;; amdgpu-corpus repo=ROCm/rocFFT kind=compiled arch=gfx1201 opt=O3
	.text
	.amdgcn_target "amdgcn-amd-amdhsa--gfx1201"
	.amdhsa_code_object_version 6
	.protected	bluestein_single_back_len1040_dim1_dp_op_CI_CI ; -- Begin function bluestein_single_back_len1040_dim1_dp_op_CI_CI
	.globl	bluestein_single_back_len1040_dim1_dp_op_CI_CI
	.p2align	8
	.type	bluestein_single_back_len1040_dim1_dp_op_CI_CI,@function
bluestein_single_back_len1040_dim1_dp_op_CI_CI: ; @bluestein_single_back_len1040_dim1_dp_op_CI_CI
; %bb.0:
	s_load_b128 s[8:11], s[0:1], 0x28
	v_mul_u32_u24_e32 v1, 0x13c, v0
	s_mov_b32 s2, exec_lo
	v_mov_b32_e32 v141, 0
	s_delay_alu instid0(VALU_DEP_2) | instskip(NEXT) | instid1(VALU_DEP_1)
	v_lshrrev_b32_e32 v1, 16, v1
	v_add_nc_u32_e32 v140, ttmp9, v1
	s_wait_kmcnt 0x0
	s_delay_alu instid0(VALU_DEP_1)
	v_cmpx_gt_u64_e64 s[8:9], v[140:141]
	s_cbranch_execz .LBB0_23
; %bb.1:
	v_mul_lo_u16 v1, 0xd0, v1
	s_clause 0x1
	s_load_b64 s[12:13], s[0:1], 0x0
	s_load_b64 s[8:9], s[0:1], 0x38
	s_delay_alu instid0(VALU_DEP_1) | instskip(NEXT) | instid1(VALU_DEP_1)
	v_sub_nc_u16 v0, v0, v1
	v_and_b32_e32 v169, 0xffff, v0
	v_cmp_gt_u16_e32 vcc_lo, 0x50, v0
	s_delay_alu instid0(VALU_DEP_2)
	v_lshlrev_b32_e32 v168, 4, v169
	v_or_b32_e32 v167, 0x280, v169
	s_and_saveexec_b32 s3, vcc_lo
	s_cbranch_execz .LBB0_3
; %bb.2:
	s_load_b64 s[4:5], s[0:1], 0x18
	s_wait_kmcnt 0x0
	s_load_b128 s[4:7], s[4:5], 0x0
	s_wait_kmcnt 0x0
	v_mad_co_u64_u32 v[0:1], null, s6, v140, 0
	v_mad_co_u64_u32 v[2:3], null, s4, v169, 0
	;; [unrolled: 1-line block ×3, first 2 shown]
	s_delay_alu instid0(VALU_DEP_2) | instskip(SKIP_1) | instid1(VALU_DEP_1)
	v_mad_co_u64_u32 v[4:5], null, s7, v140, v[1:2]
	s_mul_u64 s[6:7], s[4:5], 0x500
	v_mad_co_u64_u32 v[5:6], null, s5, v169, v[3:4]
	v_mov_b32_e32 v1, v4
	s_delay_alu instid0(VALU_DEP_1) | instskip(NEXT) | instid1(VALU_DEP_3)
	v_lshlrev_b64_e32 v[0:1], 4, v[0:1]
	v_mov_b32_e32 v3, v5
	s_delay_alu instid0(VALU_DEP_2) | instskip(NEXT) | instid1(VALU_DEP_2)
	v_add_co_u32 v26, s2, s10, v0
	v_lshlrev_b64_e32 v[2:3], 4, v[2:3]
	s_delay_alu instid0(VALU_DEP_4) | instskip(SKIP_1) | instid1(VALU_DEP_3)
	v_add_co_ci_u32_e64 v27, s2, s11, v1, s2
	v_mov_b32_e32 v0, v17
	v_add_co_u32 v44, s2, v26, v2
	s_wait_alu 0xf1ff
	s_delay_alu instid0(VALU_DEP_3) | instskip(NEXT) | instid1(VALU_DEP_3)
	v_add_co_ci_u32_e64 v45, s2, v27, v3, s2
	v_mad_co_u64_u32 v[8:9], null, s5, v167, v[0:1]
	s_wait_alu 0xfffe
	v_add_co_u32 v48, s2, v44, s6
	s_wait_alu 0xf1ff
	v_add_co_ci_u32_e64 v49, s2, s7, v45, s2
	s_clause 0x1
	global_load_b128 v[0:3], v168, s[12:13]
	global_load_b128 v[4:7], v168, s[12:13] offset:1280
	v_add_co_u32 v52, s2, v48, s6
	s_wait_alu 0xf1ff
	v_add_co_ci_u32_e64 v53, s2, s7, v49, s2
	v_mov_b32_e32 v17, v8
	s_delay_alu instid0(VALU_DEP_3) | instskip(SKIP_1) | instid1(VALU_DEP_3)
	v_add_co_u32 v56, s2, v52, s6
	s_wait_alu 0xf1ff
	v_add_co_ci_u32_e64 v57, s2, s7, v53, s2
	s_delay_alu instid0(VALU_DEP_3) | instskip(NEXT) | instid1(VALU_DEP_3)
	v_lshlrev_b64_e32 v[24:25], 4, v[16:17]
	v_add_co_u32 v60, s2, v56, s6
	s_wait_alu 0xf1ff
	s_delay_alu instid0(VALU_DEP_3)
	v_add_co_ci_u32_e64 v61, s2, s7, v57, s2
	s_clause 0x1
	global_load_b128 v[8:11], v168, s[12:13] offset:2560
	global_load_b128 v[12:15], v168, s[12:13] offset:3840
	v_add_co_u32 v64, s2, v60, s6
	s_wait_alu 0xf1ff
	v_add_co_ci_u32_e64 v65, s2, s7, v61, s2
	s_clause 0x1
	global_load_b128 v[16:19], v168, s[12:13] offset:5120
	global_load_b128 v[20:23], v168, s[12:13] offset:6400
	v_add_co_u32 v68, s2, v64, s6
	s_wait_alu 0xf1ff
	v_add_co_ci_u32_e64 v69, s2, s7, v65, s2
	s_delay_alu instid0(VALU_DEP_2) | instskip(SKIP_1) | instid1(VALU_DEP_2)
	v_add_co_u32 v72, s2, v68, s6
	s_wait_alu 0xf1ff
	v_add_co_ci_u32_e64 v73, s2, s7, v69, s2
	v_add_co_u32 v40, s2, v26, v24
	s_wait_alu 0xf1ff
	v_add_co_ci_u32_e64 v41, s2, v27, v25, s2
	s_delay_alu instid0(VALU_DEP_3)
	v_mad_co_u64_u32 v[76:77], null, 0xa00, s4, v[72:73]
	s_clause 0x3
	global_load_b128 v[24:27], v168, s[12:13] offset:10240
	global_load_b128 v[28:31], v168, s[12:13] offset:11520
	;; [unrolled: 1-line block ×4, first 2 shown]
	global_load_b128 v[40:43], v[40:41], off
	v_mov_b32_e32 v46, v77
	v_add_co_u32 v80, s2, v76, s6
	s_delay_alu instid0(VALU_DEP_2)
	v_mad_co_u64_u32 v[74:75], null, 0xa00, s5, v[46:47]
	s_clause 0x4
	global_load_b128 v[44:47], v[44:45], off
	global_load_b128 v[48:51], v[48:49], off
	;; [unrolled: 1-line block ×7, first 2 shown]
	v_mov_b32_e32 v77, v74
	global_load_b128 v[72:75], v[72:73], off
	s_wait_alu 0xf1ff
	v_add_co_ci_u32_e64 v81, s2, s7, v77, s2
	v_add_co_u32 v92, s2, v80, s6
	global_load_b128 v[76:79], v[76:77], off
	s_wait_alu 0xf1ff
	v_add_co_ci_u32_e64 v93, s2, s7, v81, s2
	v_add_co_u32 v100, s2, v92, s6
	global_load_b128 v[80:83], v[80:81], off
	s_wait_alu 0xf1ff
	v_add_co_ci_u32_e64 v101, s2, s7, v93, s2
	s_clause 0x1
	global_load_b128 v[84:87], v168, s[12:13] offset:12800
	global_load_b128 v[88:91], v168, s[12:13] offset:14080
	global_load_b128 v[92:95], v[92:93], off
	global_load_b128 v[96:99], v168, s[12:13] offset:15360
	global_load_b128 v[100:103], v[100:101], off
	s_wait_loadcnt 0xf
	v_mul_f64_e32 v[106:107], v[42:43], v[26:27]
	v_mul_f64_e32 v[26:27], v[40:41], v[26:27]
	s_wait_loadcnt 0xe
	v_mul_f64_e32 v[104:105], v[46:47], v[2:3]
	v_mul_f64_e32 v[2:3], v[44:45], v[2:3]
	;; [unrolled: 3-line block ×13, first 2 shown]
	v_fma_f64 v[44:45], v[44:45], v[0:1], v[104:105]
	v_fma_f64 v[46:47], v[46:47], v[0:1], -v[2:3]
	v_fma_f64 v[0:1], v[40:41], v[24:25], v[106:107]
	v_fma_f64 v[2:3], v[42:43], v[24:25], -v[26:27]
	;; [unrolled: 2-line block ×13, first 2 shown]
	ds_store_b128 v168, v[44:47]
	ds_store_b128 v168, v[22:25] offset:1280
	ds_store_b128 v168, v[4:7] offset:2560
	;; [unrolled: 1-line block ×12, first 2 shown]
.LBB0_3:
	s_or_b32 exec_lo, exec_lo, s3
	global_wb scope:SCOPE_SE
	s_wait_dscnt 0x0
	s_wait_kmcnt 0x0
	s_barrier_signal -1
	s_barrier_wait -1
	global_inv scope:SCOPE_SE
                                        ; implicit-def: $vgpr8_vgpr9
                                        ; implicit-def: $vgpr28_vgpr29
                                        ; implicit-def: $vgpr16_vgpr17
                                        ; implicit-def: $vgpr0_vgpr1
                                        ; implicit-def: $vgpr4_vgpr5
                                        ; implicit-def: $vgpr12_vgpr13
                                        ; implicit-def: $vgpr20_vgpr21
                                        ; implicit-def: $vgpr24_vgpr25
                                        ; implicit-def: $vgpr32_vgpr33
                                        ; implicit-def: $vgpr36_vgpr37
                                        ; implicit-def: $vgpr40_vgpr41
                                        ; implicit-def: $vgpr44_vgpr45
                                        ; implicit-def: $vgpr48_vgpr49
	s_and_saveexec_b32 s2, vcc_lo
	s_cbranch_execz .LBB0_5
; %bb.4:
	ds_load_b128 v[8:11], v168
	ds_load_b128 v[48:51], v168 offset:1280
	ds_load_b128 v[44:47], v168 offset:2560
	;; [unrolled: 1-line block ×12, first 2 shown]
.LBB0_5:
	s_wait_alu 0xfffe
	s_or_b32 exec_lo, exec_lo, s2
	s_wait_dscnt 0xb
	v_add_f64_e32 v[52:53], v[8:9], v[48:49]
	v_add_f64_e32 v[54:55], v[10:11], v[50:51]
	s_wait_dscnt 0x1
	v_add_f64_e64 v[60:61], v[46:47], -v[6:7]
	v_add_f64_e64 v[72:73], v[40:41], -v[12:13]
	v_add_f64_e32 v[56:57], v[16:17], v[36:37]
	v_add_f64_e64 v[78:79], v[38:39], -v[18:19]
	v_add_f64_e64 v[76:77], v[36:37], -v[16:17]
	s_wait_dscnt 0x0
	v_add_f64_e64 v[70:71], v[50:51], -v[2:3]
	v_add_f64_e64 v[68:69], v[48:49], -v[0:1]
	v_add_f64_e64 v[84:85], v[34:35], -v[22:23]
	v_add_f64_e64 v[86:87], v[32:33], -v[20:21]
	v_add_f64_e32 v[66:67], v[20:21], v[32:33]
	s_mov_b32 s22, 0x42a4c3d2
	s_mov_b32 s26, 0x66966769
	;; [unrolled: 1-line block ×12, first 2 shown]
	v_add_f64_e64 v[58:59], v[44:45], -v[4:5]
	v_add_f64_e64 v[74:75], v[42:43], -v[14:15]
	;; [unrolled: 1-line block ×4, first 2 shown]
	s_mov_b32 s2, 0xe00740e9
	s_mov_b32 s4, 0x1ea71119
	s_mov_b32 s6, 0xebaa3ed8
	s_mov_b32 s10, 0xb2365da1
	s_mov_b32 s14, 0xd0032e0c
	s_mov_b32 s16, 0x93053d00
	s_mov_b32 s3, 0x3fec55a7
	s_mov_b32 s5, 0x3fe22d96
	s_mov_b32 s7, 0x3fbedb7d
	s_mov_b32 s11, 0xbfd6b1d8
	v_add_f64_e32 v[62:63], v[44:45], v[52:53]
	v_add_f64_e32 v[64:65], v[46:47], v[54:55]
	;; [unrolled: 1-line block ×8, first 2 shown]
	v_mul_f64_e32 v[92:93], s[18:19], v[70:71]
	v_mul_f64_e32 v[94:95], s[18:19], v[68:69]
	;; [unrolled: 1-line block ×12, first 2 shown]
	s_mov_b32 s15, 0xbfe7f3cc
	s_mov_b32 s17, 0xbfef11f4
	;; [unrolled: 1-line block ×7, first 2 shown]
	v_mul_f64_e32 v[112:113], s[22:23], v[60:61]
	v_mul_f64_e32 v[114:115], s[22:23], v[58:59]
	v_mul_f64_e32 v[128:129], s[20:21], v[60:61]
	v_mul_f64_e32 v[130:131], s[20:21], v[58:59]
	v_mul_f64_e32 v[145:146], s[28:29], v[60:61]
	v_mul_f64_e32 v[147:148], s[38:39], v[60:61]
	v_mul_f64_e32 v[149:150], s[30:31], v[60:61]
	v_mul_f64_e32 v[151:152], s[28:29], v[58:59]
	v_mul_f64_e32 v[153:154], s[38:39], v[58:59]
	v_mul_f64_e32 v[155:156], s[30:31], v[58:59]
	v_mul_f64_e32 v[170:171], s[24:25], v[72:73]
	v_add_f64_e32 v[80:81], v[40:41], v[62:63]
	v_add_f64_e32 v[82:83], v[42:43], v[64:65]
	;; [unrolled: 1-line block ×6, first 2 shown]
	s_wait_alu 0xfffe
	v_mul_f64_e32 v[60:61], s[18:19], v[60:61]
	v_mul_f64_e32 v[58:59], s[18:19], v[58:59]
	v_fma_f64 v[208:209], v[52:53], s[2:3], -v[92:93]
	v_fma_f64 v[210:211], v[48:49], s[2:3], v[94:95]
	v_fma_f64 v[92:93], v[52:53], s[2:3], v[92:93]
	v_fma_f64 v[94:95], v[48:49], s[2:3], -v[94:95]
	v_fma_f64 v[212:213], v[52:53], s[4:5], -v[96:97]
	v_fma_f64 v[96:97], v[52:53], s[4:5], v[96:97]
	v_fma_f64 v[214:215], v[52:53], s[6:7], -v[98:99]
	v_fma_f64 v[98:99], v[52:53], s[6:7], v[98:99]
	;; [unrolled: 2-line block ×5, first 2 shown]
	v_fma_f64 v[70:71], v[48:49], s[6:7], v[106:107]
	v_fma_f64 v[222:223], v[48:49], s[14:15], v[110:111]
	v_fma_f64 v[110:111], v[48:49], s[14:15], -v[110:111]
	v_fma_f64 v[224:225], v[48:49], s[16:17], v[68:69]
	s_mov_b32 s41, 0x3fedeba7
	s_mov_b32 s40, s20
	v_mul_f64_e32 v[116:117], s[26:27], v[74:75]
	v_mul_f64_e32 v[132:133], s[28:29], v[74:75]
	;; [unrolled: 1-line block ×9, first 2 shown]
	v_fma_f64 v[226:227], v[54:55], s[4:5], v[114:115]
	v_add_f64_e32 v[36:37], v[36:37], v[80:81]
	v_add_f64_e32 v[38:39], v[38:39], v[82:83]
	v_mul_f64_e32 v[80:81], s[26:27], v[72:73]
	v_mul_f64_e32 v[72:73], s[18:19], v[72:73]
	v_fma_f64 v[114:115], v[54:55], s[4:5], -v[114:115]
	v_fma_f64 v[232:233], v[50:51], s[10:11], -v[128:129]
	v_fma_f64 v[234:235], v[54:55], s[10:11], v[130:131]
	v_fma_f64 v[128:129], v[50:51], s[10:11], v[128:129]
	v_fma_f64 v[240:241], v[50:51], s[16:17], -v[145:146]
	v_fma_f64 v[145:146], v[50:51], s[16:17], v[145:146]
	v_fma_f64 v[242:243], v[50:51], s[14:15], -v[147:148]
	;; [unrolled: 2-line block ×7, first 2 shown]
	v_add_f64_e32 v[208:209], v[8:9], v[208:209]
	v_add_f64_e32 v[210:211], v[10:11], v[210:211]
	v_add_f64_e32 v[92:93], v[8:9], v[92:93]
	v_add_f64_e32 v[94:95], v[10:11], v[94:95]
	v_add_f64_e32 v[212:213], v[8:9], v[212:213]
	v_add_f64_e32 v[96:97], v[8:9], v[96:97]
	v_add_f64_e32 v[214:215], v[8:9], v[214:215]
	v_add_f64_e32 v[70:71], v[10:11], v[70:71]
	v_add_f64_e32 v[98:99], v[8:9], v[98:99]
	v_add_f64_e32 v[216:217], v[8:9], v[216:217]
	v_add_f64_e32 v[100:101], v[8:9], v[100:101]
	v_add_f64_e32 v[218:219], v[8:9], v[218:219]
	v_add_f64_e32 v[222:223], v[10:11], v[222:223]
	v_add_f64_e32 v[102:103], v[8:9], v[102:103]
	v_add_f64_e32 v[110:111], v[10:11], v[110:111]
	v_add_f64_e32 v[220:221], v[8:9], v[220:221]
	v_add_f64_e32 v[224:225], v[10:11], v[224:225]
	v_add_f64_e32 v[32:33], v[32:33], v[36:37]
	v_add_f64_e32 v[34:35], v[34:35], v[38:39]
	v_add_f64_e32 v[8:9], v[8:9], v[52:53]
	s_mov_b32 s37, 0x3fcea1e5
	s_mov_b32 s35, 0x3fea55e2
	;; [unrolled: 1-line block ×4, first 2 shown]
	v_mul_f64_e32 v[82:83], s[20:21], v[78:79]
	v_mul_f64_e32 v[118:119], s[20:21], v[76:77]
	;; [unrolled: 1-line block ×12, first 2 shown]
	v_fma_f64 v[228:229], v[46:47], s[6:7], -v[116:117]
	v_fma_f64 v[230:231], v[44:45], s[6:7], v[80:81]
	v_fma_f64 v[116:117], v[46:47], s[6:7], v[116:117]
	v_fma_f64 v[80:81], v[44:45], s[6:7], -v[80:81]
	v_fma_f64 v[236:237], v[46:47], s[16:17], -v[132:133]
	v_fma_f64 v[238:239], v[44:45], s[16:17], v[134:135]
	v_fma_f64 v[252:253], v[46:47], s[14:15], -v[161:162]
	v_fma_f64 v[161:162], v[46:47], s[14:15], v[161:162]
	v_fma_f64 v[134:135], v[44:45], s[16:17], -v[134:135]
	v_fma_f64 v[52:53], v[44:45], s[10:11], -v[163:164]
	v_add_f64_e32 v[210:211], v[226:227], v[210:211]
	v_add_f64_e32 v[94:95], v[114:115], v[94:95]
	;; [unrolled: 1-line block ×11, first 2 shown]
	v_fma_f64 v[32:33], v[48:49], s[4:5], v[104:105]
	v_fma_f64 v[34:35], v[48:49], s[4:5], -v[104:105]
	v_fma_f64 v[104:105], v[48:49], s[6:7], -v[106:107]
	v_fma_f64 v[106:107], v[48:49], s[10:11], v[108:109]
	v_fma_f64 v[108:109], v[48:49], s[10:11], -v[108:109]
	v_fma_f64 v[48:49], v[48:49], s[16:17], -v[68:69]
	;; [unrolled: 1-line block ×3, first 2 shown]
	v_fma_f64 v[112:113], v[50:51], s[4:5], v[112:113]
	v_add_f64_e32 v[147:148], v[244:245], v[218:219]
	v_add_f64_e32 v[102:103], v[149:150], v[102:103]
	;; [unrolled: 1-line block ×3, first 2 shown]
	v_mul_f64_e32 v[120:121], s[24:25], v[84:85]
	v_mul_f64_e32 v[122:123], s[24:25], v[86:87]
	;; [unrolled: 1-line block ×12, first 2 shown]
	v_fma_f64 v[114:115], v[56:57], s[14:15], -v[136:137]
	v_fma_f64 v[232:233], v[40:41], s[14:15], v[138:139]
	v_fma_f64 v[136:137], v[56:57], s[14:15], v[136:137]
	v_fma_f64 v[240:241], v[56:57], s[16:17], -v[174:175]
	v_fma_f64 v[174:175], v[56:57], s[16:17], v[174:175]
	v_fma_f64 v[246:247], v[56:57], s[4:5], -v[176:177]
	v_fma_f64 v[138:139], v[40:41], s[14:15], -v[138:139]
	v_fma_f64 v[149:150], v[40:41], s[6:7], v[178:179]
	v_fma_f64 v[155:156], v[40:41], s[16:17], v[180:181]
	v_fma_f64 v[216:217], v[56:57], s[2:3], -v[78:79]
	v_mul_f64_e32 v[124:125], s[28:29], v[88:89]
	v_mul_f64_e32 v[126:127], s[28:29], v[90:91]
	;; [unrolled: 1-line block ×3, first 2 shown]
	v_add_f64_e32 v[24:25], v[24:25], v[28:29]
	v_add_f64_e32 v[26:27], v[26:27], v[30:31]
	;; [unrolled: 1-line block ×8, first 2 shown]
	v_fma_f64 v[28:29], v[46:47], s[16:17], v[132:133]
	v_fma_f64 v[30:31], v[46:47], s[10:11], -v[157:158]
	v_fma_f64 v[132:133], v[46:47], s[10:11], v[157:158]
	v_fma_f64 v[157:158], v[46:47], s[4:5], -v[159:160]
	v_fma_f64 v[159:160], v[46:47], s[4:5], v[159:160]
	v_fma_f64 v[48:49], v[44:45], s[10:11], v[163:164]
	;; [unrolled: 1-line block ×3, first 2 shown]
	v_fma_f64 v[165:166], v[44:45], s[4:5], -v[165:166]
	v_add_f64_e32 v[68:69], v[68:69], v[208:209]
	v_add_f64_e32 v[92:93], v[112:113], v[92:93]
	v_fma_f64 v[208:209], v[40:41], s[10:11], v[118:119]
	v_fma_f64 v[118:119], v[40:41], s[10:11], -v[118:119]
	v_mul_f64_e32 v[194:195], s[24:25], v[90:91]
	v_mul_f64_e32 v[196:197], s[34:35], v[88:89]
	;; [unrolled: 1-line block ×9, first 2 shown]
	v_fma_f64 v[226:227], v[66:67], s[14:15], -v[120:121]
	v_fma_f64 v[112:113], v[64:65], s[14:15], v[122:123]
	v_fma_f64 v[120:121], v[66:67], s[14:15], v[120:121]
	v_fma_f64 v[122:123], v[64:65], s[14:15], -v[122:123]
	v_fma_f64 v[128:129], v[64:65], s[6:7], v[143:144]
	global_wb scope:SCOPE_SE
	s_barrier_signal -1
	s_barrier_wait -1
	global_inv scope:SCOPE_SE
	v_add_f64_e32 v[20:21], v[20:21], v[24:25]
	v_add_f64_e32 v[22:23], v[22:23], v[26:27]
	v_fma_f64 v[24:25], v[44:45], s[14:15], v[170:171]
	v_fma_f64 v[26:27], v[44:45], s[14:15], -v[170:171]
	v_fma_f64 v[170:171], v[50:51], s[2:3], -v[60:61]
	v_fma_f64 v[50:51], v[50:51], s[2:3], v[60:61]
	v_fma_f64 v[60:61], v[54:55], s[2:3], v[58:59]
	v_fma_f64 v[54:55], v[54:55], s[2:3], -v[58:59]
	v_fma_f64 v[58:59], v[46:47], s[2:3], -v[74:75]
	v_fma_f64 v[46:47], v[46:47], s[2:3], v[74:75]
	v_fma_f64 v[74:75], v[44:45], s[2:3], v[72:73]
	v_fma_f64 v[44:45], v[44:45], s[2:3], -v[72:73]
	v_add_f64_e32 v[32:33], v[234:235], v[32:33]
	v_add_f64_e32 v[34:35], v[130:131], v[34:35]
	;; [unrolled: 1-line block ×6, first 2 shown]
	v_fma_f64 v[72:73], v[56:57], s[10:11], -v[82:83]
	v_fma_f64 v[82:83], v[56:57], s[10:11], v[82:83]
	v_fma_f64 v[130:131], v[56:57], s[6:7], -v[172:173]
	v_fma_f64 v[172:173], v[56:57], s[6:7], v[172:173]
	v_fma_f64 v[153:154], v[56:57], s[4:5], v[176:177]
	v_fma_f64 v[176:177], v[40:41], s[6:7], -v[178:179]
	v_fma_f64 v[178:179], v[40:41], s[16:17], -v[180:181]
	v_fma_f64 v[180:181], v[40:41], s[4:5], v[182:183]
	v_fma_f64 v[182:183], v[40:41], s[4:5], -v[182:183]
	v_fma_f64 v[56:57], v[56:57], s[2:3], v[78:79]
	v_fma_f64 v[78:79], v[40:41], s[2:3], v[76:77]
	v_fma_f64 v[40:41], v[40:41], s[2:3], -v[76:77]
	v_add_f64_e32 v[76:77], v[80:81], v[94:95]
	v_add_f64_e32 v[80:81], v[236:237], v[212:213]
	;; [unrolled: 1-line block ×4, first 2 shown]
	v_fma_f64 v[234:235], v[66:67], s[6:7], -v[141:142]
	v_add_f64_e32 v[16:17], v[16:17], v[20:21]
	v_add_f64_e32 v[18:19], v[18:19], v[22:23]
	;; [unrolled: 1-line block ×22, first 2 shown]
	v_fma_f64 v[92:93], v[66:67], s[6:7], v[141:142]
	v_fma_f64 v[96:97], v[66:67], s[4:5], -v[184:185]
	v_fma_f64 v[98:99], v[66:67], s[4:5], v[184:185]
	v_fma_f64 v[100:101], v[66:67], s[16:17], -v[186:187]
	;; [unrolled: 2-line block ×5, first 2 shown]
	v_fma_f64 v[134:135], v[64:65], s[2:3], v[86:87]
	v_add_f64_e32 v[12:13], v[12:13], v[16:17]
	v_add_f64_e32 v[14:15], v[14:15], v[18:19]
	;; [unrolled: 1-line block ×8, first 2 shown]
	v_fma_f64 v[60:61], v[66:67], s[2:3], -v[84:85]
	v_add_f64_e32 v[26:27], v[72:73], v[50:51]
	v_add_f64_e32 v[50:51], v[208:209], v[54:55]
	v_add_f64_e32 v[54:55], v[82:83], v[68:69]
	v_add_f64_e32 v[68:69], v[118:119], v[76:77]
	v_add_f64_e32 v[72:73], v[114:115], v[80:81]
	v_add_f64_e32 v[32:33], v[232:233], v[32:33]
	v_add_f64_e32 v[18:19], v[138:139], v[22:23]
	v_add_f64_e32 v[22:23], v[78:79], v[30:31]
	v_add_f64_e32 v[28:29], v[56:57], v[34:35]
	v_add_f64_e32 v[30:31], v[40:41], v[48:49]
	v_add_f64_e32 v[34:35], v[130:131], v[52:53]
	v_add_f64_e32 v[40:41], v[149:150], v[58:59]
	v_add_f64_e32 v[46:47], v[172:173], v[46:47]
	v_add_f64_e32 v[44:45], v[176:177], v[44:45]
	v_add_f64_e32 v[48:49], v[240:241], v[70:71]
	v_add_f64_e32 v[52:53], v[155:156], v[74:75]
	v_fma_f64 v[56:57], v[66:67], s[2:3], v[84:85]
	v_add_f64_e32 v[58:59], v[174:175], v[94:95]
	v_fma_f64 v[76:77], v[64:65], s[2:3], -v[86:87]
	v_add_f64_e32 v[78:79], v[178:179], v[102:103]
	v_fma_f64 v[84:85], v[66:67], s[10:11], -v[36:37]
	v_fma_f64 v[36:37], v[66:67], s[10:11], v[36:37]
	v_fma_f64 v[66:67], v[64:65], s[10:11], v[190:191]
	v_fma_f64 v[64:65], v[64:65], s[10:11], -v[190:191]
	v_fma_f64 v[70:71], v[62:63], s[16:17], -v[124:125]
	v_fma_f64 v[74:75], v[42:43], s[16:17], v[126:127]
	v_fma_f64 v[80:81], v[62:63], s[16:17], v[124:125]
	v_fma_f64 v[82:83], v[42:43], s[16:17], -v[126:127]
	v_fma_f64 v[94:95], v[62:63], s[2:3], -v[88:89]
	v_fma_f64 v[102:103], v[42:43], s[2:3], v[90:91]
	v_add_f64_e32 v[4:5], v[4:5], v[12:13]
	v_add_f64_e32 v[6:7], v[6:7], v[14:15]
	;; [unrolled: 1-line block ×24, first 2 shown]
	v_fma_f64 v[46:47], v[62:63], s[14:15], -v[192:193]
	v_add_f64_e32 v[48:49], v[56:57], v[58:59]
	v_fma_f64 v[52:53], v[42:43], s[14:15], v[194:195]
	v_fma_f64 v[56:57], v[62:63], s[14:15], v[192:193]
	v_fma_f64 v[58:59], v[42:43], s[14:15], -v[194:195]
	v_add_f64_e32 v[98:99], v[76:77], v[78:79]
	v_fma_f64 v[76:77], v[62:63], s[2:3], v[88:89]
	v_fma_f64 v[78:79], v[42:43], s[2:3], -v[90:91]
	v_fma_f64 v[88:89], v[62:63], s[4:5], -v[196:197]
	v_fma_f64 v[90:91], v[62:63], s[4:5], v[196:197]
	v_fma_f64 v[96:97], v[42:43], s[4:5], -v[198:199]
	v_fma_f64 v[112:113], v[62:63], s[10:11], -v[200:201]
	;; [unrolled: 3-line block ×3, first 2 shown]
	v_fma_f64 v[120:121], v[62:63], s[6:7], v[204:205]
	v_fma_f64 v[122:123], v[42:43], s[6:7], v[206:207]
	v_add_f64_e32 v[84:85], v[84:85], v[86:87]
	v_fma_f64 v[86:87], v[42:43], s[4:5], v[198:199]
	v_add_f64_e32 v[24:25], v[66:67], v[24:25]
	v_add_f64_e32 v[8:9], v[36:37], v[8:9]
	v_fma_f64 v[36:37], v[42:43], s[10:11], v[202:203]
	v_fma_f64 v[42:43], v[42:43], s[6:7], -v[206:207]
	v_add_f64_e32 v[10:11], v[64:65], v[10:11]
	v_add_f64_e32 v[60:61], v[0:1], v[4:5]
	;; [unrolled: 1-line block ×9, first 2 shown]
	v_mul_lo_u16 v171, v169, 13
	v_add_f64_e32 v[72:73], v[46:47], v[16:17]
	v_add_f64_e32 v[74:75], v[52:53], v[18:19]
	;; [unrolled: 1-line block ×18, first 2 shown]
	s_and_saveexec_b32 s2, vcc_lo
	s_cbranch_execz .LBB0_7
; %bb.6:
	v_and_b32_e32 v0, 0xffff, v171
	s_delay_alu instid0(VALU_DEP_1)
	v_lshlrev_b32_e32 v0, 4, v0
	ds_store_b128 v0, v[60:63]
	ds_store_b128 v0, v[64:67] offset:16
	ds_store_b128 v0, v[68:71] offset:32
	ds_store_b128 v0, v[72:75] offset:48
	ds_store_b128 v0, v[76:79] offset:64
	ds_store_b128 v0, v[80:83] offset:80
	ds_store_b128 v0, v[84:87] offset:96
	ds_store_b128 v0, v[88:91] offset:112
	ds_store_b128 v0, v[96:99] offset:128
	ds_store_b128 v0, v[92:95] offset:144
	ds_store_b128 v0, v[104:107] offset:160
	ds_store_b128 v0, v[100:103] offset:176
	ds_store_b128 v0, v[108:111] offset:192
.LBB0_7:
	s_wait_alu 0xfffe
	s_or_b32 exec_lo, exec_lo, s2
	s_clause 0x1
	s_load_b64 s[4:5], s[0:1], 0x20
	s_load_b64 s[2:3], s[0:1], 0x8
	v_cmp_gt_u16_e64 s0, 0x41, v169
	global_wb scope:SCOPE_SE
	s_wait_dscnt 0x0
	s_wait_kmcnt 0x0
	s_barrier_signal -1
	s_barrier_wait -1
	global_inv scope:SCOPE_SE
                                        ; implicit-def: $vgpr120_vgpr121
                                        ; implicit-def: $vgpr116_vgpr117
                                        ; implicit-def: $vgpr112_vgpr113
	s_and_saveexec_b32 s1, s0
	s_cbranch_execz .LBB0_9
; %bb.8:
	ds_load_b128 v[60:63], v168
	ds_load_b128 v[64:67], v168 offset:1040
	ds_load_b128 v[68:71], v168 offset:2080
	;; [unrolled: 1-line block ×15, first 2 shown]
.LBB0_9:
	s_wait_alu 0xfffe
	s_or_b32 exec_lo, exec_lo, s1
	v_and_b32_e32 v0, 0xff, v169
	s_mov_b32 s6, 0x667f3bcd
	s_mov_b32 s7, 0xbfe6a09e
	;; [unrolled: 1-line block ×3, first 2 shown]
	s_wait_alu 0xfffe
	s_mov_b32 s10, s6
	v_mul_lo_u16 v0, 0x4f, v0
	s_mov_b32 s14, 0xcf328d46
	s_mov_b32 s16, 0xa6aea964
	s_mov_b32 s15, 0xbfed906b
	s_mov_b32 s17, 0xbfd87de2
	v_lshrrev_b16 v124, 10, v0
	s_mov_b32 s19, 0x3fd87de2
	s_mov_b32 s21, 0x3fed906b
	s_wait_alu 0xfffe
	s_mov_b32 s18, s16
	s_mov_b32 s20, s14
	v_mul_lo_u16 v0, v124, 13
	s_delay_alu instid0(VALU_DEP_1) | instskip(NEXT) | instid1(VALU_DEP_1)
	v_sub_nc_u16 v0, v169, v0
	v_and_b32_e32 v170, 0xff, v0
	s_delay_alu instid0(VALU_DEP_1)
	v_mad_co_u64_u32 v[52:53], null, 0xf0, v170, s[2:3]
	s_clause 0xe
	global_load_b128 v[0:3], v[52:53], off
	global_load_b128 v[12:15], v[52:53], off offset:16
	global_load_b128 v[8:11], v[52:53], off offset:32
	;; [unrolled: 1-line block ×14, first 2 shown]
	global_wb scope:SCOPE_SE
	s_wait_loadcnt_dscnt 0x0
	s_barrier_signal -1
	s_barrier_wait -1
	global_inv scope:SCOPE_SE
	v_mul_f64_e32 v[125:126], v[66:67], v[2:3]
	v_mul_f64_e32 v[127:128], v[64:65], v[2:3]
	;; [unrolled: 1-line block ×30, first 2 shown]
	v_fma_f64 v[64:65], v[64:65], v[0:1], -v[125:126]
	v_fma_f64 v[66:67], v[66:67], v[0:1], v[127:128]
	v_fma_f64 v[68:69], v[68:69], v[12:13], -v[129:130]
	v_fma_f64 v[70:71], v[70:71], v[12:13], v[131:132]
	;; [unrolled: 2-line block ×14, first 2 shown]
	v_fma_f64 v[122:123], v[122:123], v[52:53], v[188:189]
	v_fma_f64 v[120:121], v[120:121], v[52:53], -v[190:191]
	v_and_b32_e32 v172, 0xffff, v124
	v_add_f64_e64 v[96:97], v[60:61], -v[96:97]
	v_add_f64_e64 v[98:99], v[62:63], -v[98:99]
	;; [unrolled: 1-line block ×16, first 2 shown]
	v_fma_f64 v[60:61], v[60:61], 2.0, -v[96:97]
	v_fma_f64 v[62:63], v[62:63], 2.0, -v[98:99]
	v_add_f64_e32 v[127:128], v[98:99], v[108:109]
	v_add_f64_e64 v[125:126], v[96:97], -v[110:111]
	v_fma_f64 v[76:77], v[76:77], 2.0, -v[108:109]
	v_fma_f64 v[78:79], v[78:79], 2.0, -v[110:111]
	v_add_f64_e32 v[131:132], v[106:107], v[116:117]
	v_add_f64_e64 v[129:130], v[104:105], -v[118:119]
	;; [unrolled: 4-line block ×3, first 2 shown]
	v_fma_f64 v[84:85], v[84:85], 2.0, -v[116:117]
	v_fma_f64 v[86:87], v[86:87], 2.0, -v[118:119]
	v_add_f64_e64 v[137:138], v[100:101], -v[122:123]
	v_add_f64_e32 v[141:142], v[102:103], v[120:121]
	v_fma_f64 v[64:65], v[64:65], 2.0, -v[92:93]
	v_fma_f64 v[66:67], v[66:67], 2.0, -v[94:95]
	;; [unrolled: 1-line block ×10, first 2 shown]
	v_add_f64_e64 v[76:77], v[60:61], -v[76:77]
	v_add_f64_e64 v[78:79], v[62:63], -v[78:79]
	v_fma_f64 v[106:107], v[106:107], 2.0, -v[131:132]
	v_fma_f64 v[104:105], v[104:105], 2.0, -v[129:130]
	v_fma_f64 v[108:109], v[129:130], s[10:11], v[125:126]
	v_fma_f64 v[110:111], v[131:132], s[10:11], v[127:128]
	v_fma_f64 v[94:95], v[94:95], 2.0, -v[135:136]
	v_fma_f64 v[92:93], v[92:93], 2.0, -v[133:134]
	v_add_f64_e64 v[84:85], v[68:69], -v[84:85]
	v_add_f64_e64 v[86:87], v[70:71], -v[86:87]
	v_fma_f64 v[100:101], v[100:101], 2.0, -v[137:138]
	v_fma_f64 v[102:103], v[102:103], 2.0, -v[141:142]
	v_fma_f64 v[112:113], v[137:138], s[10:11], v[133:134]
	v_fma_f64 v[114:115], v[141:142], s[10:11], v[135:136]
	v_add_f64_e64 v[80:81], v[64:65], -v[80:81]
	v_add_f64_e64 v[82:83], v[66:67], -v[82:83]
	;; [unrolled: 1-line block ×4, first 2 shown]
	v_fma_f64 v[143:144], v[60:61], 2.0, -v[76:77]
	v_fma_f64 v[145:146], v[62:63], 2.0, -v[78:79]
	v_fma_f64 v[118:119], v[106:107], s[6:7], v[98:99]
	v_fma_f64 v[116:117], v[104:105], s[6:7], v[96:97]
	;; [unrolled: 1-line block ×4, first 2 shown]
	v_fma_f64 v[60:61], v[68:69], 2.0, -v[84:85]
	v_fma_f64 v[62:63], v[70:71], 2.0, -v[86:87]
	v_fma_f64 v[120:121], v[100:101], s[6:7], v[92:93]
	v_fma_f64 v[122:123], v[102:103], s[6:7], v[94:95]
	v_add_f64_e64 v[151:152], v[76:77], -v[86:87]
	v_add_f64_e32 v[153:154], v[78:79], v[84:85]
	v_fma_f64 v[147:148], v[64:65], 2.0, -v[80:81]
	v_fma_f64 v[149:150], v[66:67], 2.0, -v[82:83]
	;; [unrolled: 1-line block ×4, first 2 shown]
	v_add_f64_e64 v[84:85], v[80:81], -v[90:91]
	v_add_f64_e32 v[86:87], v[82:83], v[88:89]
	v_fma_f64 v[88:89], v[141:142], s[6:7], v[112:113]
	v_fma_f64 v[90:91], v[137:138], s[10:11], v[114:115]
	;; [unrolled: 1-line block ×4, first 2 shown]
	v_fma_f64 v[64:65], v[125:126], 2.0, -v[108:109]
	v_fma_f64 v[72:73], v[127:128], 2.0, -v[129:130]
	v_add_f64_e64 v[60:61], v[143:144], -v[60:61]
	v_fma_f64 v[102:103], v[102:103], s[6:7], v[120:121]
	v_fma_f64 v[100:101], v[100:101], s[10:11], v[122:123]
	v_add_f64_e64 v[122:123], v[145:146], -v[62:63]
	v_fma_f64 v[62:63], v[76:77], 2.0, -v[151:152]
	v_fma_f64 v[68:69], v[78:79], 2.0, -v[153:154]
	v_add_f64_e64 v[104:105], v[147:148], -v[66:67]
	v_add_f64_e64 v[106:107], v[149:150], -v[70:71]
	v_fma_f64 v[112:113], v[80:81], 2.0, -v[84:85]
	v_fma_f64 v[116:117], v[82:83], 2.0, -v[86:87]
	;; [unrolled: 1-line block ×4, first 2 shown]
	v_fma_f64 v[76:77], v[84:85], s[10:11], v[151:152]
	v_fma_f64 v[78:79], v[86:87], s[10:11], v[153:154]
	s_wait_alu 0xfffe
	v_fma_f64 v[127:128], v[88:89], s[20:21], v[108:109]
	v_fma_f64 v[120:121], v[98:99], 2.0, -v[114:115]
	v_fma_f64 v[66:67], v[96:97], 2.0, -v[110:111]
	v_fma_f64 v[96:97], v[90:91], s[20:21], v[129:130]
	v_fma_f64 v[70:71], v[143:144], 2.0, -v[60:61]
	v_fma_f64 v[131:132], v[92:93], 2.0, -v[102:103]
	;; [unrolled: 1-line block ×3, first 2 shown]
	v_fma_f64 v[92:93], v[102:103], s[18:19], v[110:111]
	v_fma_f64 v[94:95], v[100:101], s[18:19], v[114:115]
	v_fma_f64 v[74:75], v[145:146], 2.0, -v[122:123]
	v_fma_f64 v[98:99], v[147:148], 2.0, -v[104:105]
	;; [unrolled: 1-line block ×3, first 2 shown]
	v_fma_f64 v[137:138], v[112:113], s[6:7], v[62:63]
	v_fma_f64 v[141:142], v[116:117], s[6:7], v[68:69]
	;; [unrolled: 1-line block ×7, first 2 shown]
	v_add_f64_e32 v[90:91], v[122:123], v[104:105]
	v_fma_f64 v[86:87], v[88:89], s[18:19], v[96:97]
	v_add_f64_e64 v[88:89], v[60:61], -v[106:107]
	v_fma_f64 v[127:128], v[131:132], s[14:15], v[66:67]
	v_fma_f64 v[147:148], v[133:134], s[14:15], v[120:121]
	v_fma_f64 v[76:77], v[100:101], s[14:15], v[92:93]
	v_fma_f64 v[78:79], v[102:103], s[20:21], v[94:95]
	v_add_f64_e64 v[104:105], v[70:71], -v[98:99]
	v_add_f64_e64 v[106:107], v[74:75], -v[135:136]
	v_fma_f64 v[96:97], v[116:117], s[6:7], v[137:138]
	v_fma_f64 v[98:99], v[112:113], s[10:11], v[141:142]
	;; [unrolled: 1-line block ×4, first 2 shown]
	v_fma_f64 v[116:117], v[151:152], 2.0, -v[80:81]
	v_fma_f64 v[118:119], v[153:154], 2.0, -v[82:83]
	v_fma_f64 v[112:113], v[108:109], 2.0, -v[84:85]
	v_fma_f64 v[100:101], v[133:134], s[16:17], v[127:128]
	v_fma_f64 v[102:103], v[131:132], s[18:19], v[147:148]
	v_fma_f64 v[108:109], v[110:111], 2.0, -v[76:77]
	v_fma_f64 v[110:111], v[114:115], 2.0, -v[78:79]
	;; [unrolled: 1-line block ×3, first 2 shown]
	s_and_saveexec_b32 s1, s0
	s_cbranch_execz .LBB0_11
; %bb.10:
	v_fma_f64 v[130:131], v[74:75], 2.0, -v[106:107]
	v_fma_f64 v[128:129], v[70:71], 2.0, -v[104:105]
	;; [unrolled: 1-line block ×10, first 2 shown]
	v_mul_u32_u24_e32 v60, 0xd0, v172
	s_delay_alu instid0(VALU_DEP_1) | instskip(NEXT) | instid1(VALU_DEP_1)
	v_or_b32_e32 v60, v60, v170
	v_lshlrev_b32_e32 v60, 4, v60
	ds_store_b128 v60, v[116:119] offset:1248
	ds_store_b128 v60, v[112:115] offset:1456
	;; [unrolled: 1-line block ×8, first 2 shown]
	ds_store_b128 v60, v[128:131]
	ds_store_b128 v60, v[124:127] offset:208
	ds_store_b128 v60, v[66:69] offset:416
	;; [unrolled: 1-line block ×7, first 2 shown]
.LBB0_11:
	s_wait_alu 0xfffe
	s_or_b32 exec_lo, exec_lo, s1
	v_lshlrev_b32_e32 v60, 6, v169
	s_load_b128 s[4:7], s[4:5], 0x0
	global_wb scope:SCOPE_SE
	s_wait_dscnt 0x0
	s_wait_kmcnt 0x0
	s_barrier_signal -1
	s_barrier_wait -1
	global_inv scope:SCOPE_SE
	s_clause 0x3
	global_load_b128 v[72:75], v60, s[2:3] offset:3120
	global_load_b128 v[68:71], v60, s[2:3] offset:3136
	global_load_b128 v[64:67], v60, s[2:3] offset:3152
	global_load_b128 v[60:63], v60, s[2:3] offset:3168
	ds_load_b128 v[120:123], v168 offset:3328
	ds_load_b128 v[124:127], v168 offset:6656
	;; [unrolled: 1-line block ×4, first 2 shown]
	s_mov_b32 s2, 0x134454ff
	s_mov_b32 s3, 0x3fee6f0e
	;; [unrolled: 1-line block ×3, first 2 shown]
	s_wait_alu 0xfffe
	s_mov_b32 s10, s2
	s_wait_loadcnt_dscnt 0x303
	v_mul_f64_e32 v[136:137], v[122:123], v[74:75]
	s_wait_loadcnt_dscnt 0x202
	v_mul_f64_e32 v[138:139], v[126:127], v[70:71]
	;; [unrolled: 2-line block ×3, first 2 shown]
	v_mul_f64_e32 v[143:144], v[120:121], v[74:75]
	s_wait_loadcnt_dscnt 0x0
	v_mul_f64_e32 v[145:146], v[134:135], v[62:63]
	v_mul_f64_e32 v[147:148], v[124:125], v[70:71]
	;; [unrolled: 1-line block ×4, first 2 shown]
	v_fma_f64 v[136:137], v[120:121], v[72:73], -v[136:137]
	v_fma_f64 v[124:125], v[124:125], v[68:69], -v[138:139]
	;; [unrolled: 1-line block ×3, first 2 shown]
	v_fma_f64 v[138:139], v[122:123], v[72:73], v[143:144]
	v_fma_f64 v[132:133], v[132:133], v[60:61], -v[145:146]
	v_fma_f64 v[126:127], v[126:127], v[68:69], v[147:148]
	v_fma_f64 v[130:131], v[130:131], v[64:65], v[149:150]
	;; [unrolled: 1-line block ×3, first 2 shown]
	ds_load_b128 v[120:123], v168
	s_wait_dscnt 0x0
	v_add_f64_e32 v[149:150], v[120:121], v[136:137]
	v_add_f64_e32 v[141:142], v[124:125], v[128:129]
	;; [unrolled: 1-line block ×4, first 2 shown]
	v_add_f64_e64 v[157:158], v[136:137], -v[132:133]
	v_add_f64_e32 v[145:146], v[126:127], v[130:131]
	v_add_f64_e32 v[147:148], v[138:139], v[134:135]
	v_add_f64_e64 v[151:152], v[138:139], -v[134:135]
	v_add_f64_e64 v[153:154], v[126:127], -v[130:131]
	;; [unrolled: 1-line block ×8, first 2 shown]
	v_fma_f64 v[141:142], v[141:142], -0.5, v[120:121]
	v_add_f64_e32 v[126:127], v[155:156], v[126:127]
	v_fma_f64 v[120:121], v[143:144], -0.5, v[120:121]
	v_add_f64_e64 v[143:144], v[124:125], -v[128:129]
	v_fma_f64 v[145:146], v[145:146], -0.5, v[122:123]
	v_fma_f64 v[122:123], v[147:148], -0.5, v[122:123]
	v_add_f64_e64 v[147:148], v[136:137], -v[124:125]
	v_add_f64_e64 v[136:137], v[124:125], -v[136:137]
	v_add_f64_e32 v[124:125], v[149:150], v[124:125]
	v_add_f64_e32 v[138:139], v[138:139], v[173:174]
	v_fma_f64 v[149:150], v[151:152], s[2:3], v[141:142]
	s_wait_alu 0xfffe
	v_fma_f64 v[141:142], v[151:152], s[10:11], v[141:142]
	v_fma_f64 v[155:156], v[153:154], s[10:11], v[120:121]
	;; [unrolled: 1-line block ×7, first 2 shown]
	s_mov_b32 s2, 0x4755a5e
	s_mov_b32 s3, 0x3fe2cf23
	;; [unrolled: 1-line block ×3, first 2 shown]
	s_wait_alu 0xfffe
	s_mov_b32 s10, s2
	v_add_f64_e32 v[147:148], v[147:148], v[159:160]
	v_add_f64_e32 v[159:160], v[136:137], v[161:162]
	;; [unrolled: 1-line block ×5, first 2 shown]
	v_fma_f64 v[128:129], v[153:154], s[2:3], v[149:150]
	s_wait_alu 0xfffe
	v_fma_f64 v[130:131], v[153:154], s[10:11], v[141:142]
	v_fma_f64 v[141:142], v[151:152], s[2:3], v[155:156]
	;; [unrolled: 1-line block ×7, first 2 shown]
	s_mov_b32 s2, 0x372fe950
	s_mov_b32 s3, 0x3fd3c6ef
	v_add_f64_e32 v[120:121], v[124:125], v[132:133]
	v_add_f64_e32 v[122:123], v[126:127], v[134:135]
	s_wait_alu 0xfffe
	v_fma_f64 v[124:125], v[147:148], s[2:3], v[128:129]
	v_fma_f64 v[136:137], v[147:148], s[2:3], v[130:131]
	;; [unrolled: 1-line block ×8, first 2 shown]
	ds_store_b128 v168, v[120:123]
	ds_store_b128 v168, v[124:127] offset:3328
	ds_store_b128 v168, v[128:131] offset:6656
	ds_store_b128 v168, v[132:135] offset:9984
	ds_store_b128 v168, v[136:139] offset:13312
	global_wb scope:SCOPE_SE
	s_wait_dscnt 0x0
	s_barrier_signal -1
	s_barrier_wait -1
	global_inv scope:SCOPE_SE
	s_and_saveexec_b32 s1, vcc_lo
	s_cbranch_execz .LBB0_13
; %bb.12:
	global_load_b128 v[141:144], v168, s[12:13] offset:16640
	s_add_nc_u64 s[2:3], s[12:13], 0x4100
	s_clause 0x3
	global_load_b128 v[145:148], v168, s[2:3] offset:1280
	global_load_b128 v[149:152], v168, s[2:3] offset:2560
	;; [unrolled: 1-line block ×4, first 2 shown]
	ds_load_b128 v[161:164], v168
	ds_load_b128 v[173:176], v168 offset:1280
	ds_load_b128 v[177:180], v168 offset:15360
	s_wait_loadcnt_dscnt 0x301
	v_mul_f64_e32 v[185:186], v[175:176], v[147:148]
	v_mul_f64_e32 v[165:166], v[163:164], v[143:144]
	;; [unrolled: 1-line block ×4, first 2 shown]
	s_delay_alu instid0(VALU_DEP_4) | instskip(NEXT) | instid1(VALU_DEP_4)
	v_fma_f64 v[173:174], v[173:174], v[145:146], -v[185:186]
	v_fma_f64 v[161:162], v[161:162], v[141:142], -v[165:166]
	s_delay_alu instid0(VALU_DEP_4)
	v_fma_f64 v[163:164], v[163:164], v[141:142], v[143:144]
	ds_load_b128 v[141:144], v168 offset:2560
	ds_load_b128 v[181:184], v168 offset:3840
	v_fma_f64 v[175:176], v[175:176], v[145:146], v[147:148]
	s_wait_loadcnt_dscnt 0x201
	v_mul_f64_e32 v[145:146], v[143:144], v[151:152]
	v_mul_f64_e32 v[147:148], v[141:142], v[151:152]
	s_wait_loadcnt_dscnt 0x100
	v_mul_f64_e32 v[165:166], v[183:184], v[155:156]
	v_mul_f64_e32 v[155:156], v[181:182], v[155:156]
	s_delay_alu instid0(VALU_DEP_4) | instskip(NEXT) | instid1(VALU_DEP_4)
	v_fma_f64 v[141:142], v[141:142], v[149:150], -v[145:146]
	v_fma_f64 v[143:144], v[143:144], v[149:150], v[147:148]
	ds_load_b128 v[149:152], v168 offset:5120
	global_load_b128 v[145:148], v168, s[2:3] offset:6400
	v_fma_f64 v[181:182], v[181:182], v[153:154], -v[165:166]
	v_fma_f64 v[183:184], v[183:184], v[153:154], v[155:156]
	ds_load_b128 v[153:156], v168 offset:6400
	s_wait_loadcnt_dscnt 0x101
	v_mul_f64_e32 v[165:166], v[151:152], v[159:160]
	v_mul_f64_e32 v[159:160], v[149:150], v[159:160]
	s_delay_alu instid0(VALU_DEP_2) | instskip(NEXT) | instid1(VALU_DEP_2)
	v_fma_f64 v[149:150], v[149:150], v[157:158], -v[165:166]
	v_fma_f64 v[151:152], v[151:152], v[157:158], v[159:160]
	global_load_b128 v[157:160], v168, s[2:3] offset:7680
	s_wait_loadcnt_dscnt 0x100
	v_mul_f64_e32 v[165:166], v[155:156], v[147:148]
	v_mul_f64_e32 v[147:148], v[153:154], v[147:148]
	s_delay_alu instid0(VALU_DEP_2) | instskip(NEXT) | instid1(VALU_DEP_2)
	v_fma_f64 v[153:154], v[153:154], v[145:146], -v[165:166]
	v_fma_f64 v[155:156], v[155:156], v[145:146], v[147:148]
	ds_load_b128 v[145:148], v168 offset:7680
	ds_load_b128 v[185:188], v168 offset:8960
	s_wait_loadcnt_dscnt 0x1
	v_mul_f64_e32 v[165:166], v[147:148], v[159:160]
	v_mul_f64_e32 v[159:160], v[145:146], v[159:160]
	s_delay_alu instid0(VALU_DEP_2) | instskip(NEXT) | instid1(VALU_DEP_2)
	v_fma_f64 v[145:146], v[145:146], v[157:158], -v[165:166]
	v_fma_f64 v[147:148], v[147:148], v[157:158], v[159:160]
	s_clause 0x1
	global_load_b128 v[157:160], v168, s[2:3] offset:8960
	global_load_b128 v[189:192], v168, s[2:3] offset:10240
	s_wait_loadcnt_dscnt 0x100
	v_mul_f64_e32 v[165:166], v[187:188], v[159:160]
	v_mul_f64_e32 v[159:160], v[185:186], v[159:160]
	s_delay_alu instid0(VALU_DEP_2) | instskip(NEXT) | instid1(VALU_DEP_2)
	v_fma_f64 v[185:186], v[185:186], v[157:158], -v[165:166]
	v_fma_f64 v[187:188], v[187:188], v[157:158], v[159:160]
	ds_load_b128 v[157:160], v168 offset:10240
	ds_load_b128 v[193:196], v168 offset:11520
	s_wait_loadcnt_dscnt 0x1
	v_mul_f64_e32 v[165:166], v[159:160], v[191:192]
	v_mul_f64_e32 v[191:192], v[157:158], v[191:192]
	s_delay_alu instid0(VALU_DEP_2) | instskip(NEXT) | instid1(VALU_DEP_2)
	v_fma_f64 v[157:158], v[157:158], v[189:190], -v[165:166]
	v_fma_f64 v[159:160], v[159:160], v[189:190], v[191:192]
	s_clause 0x1
	global_load_b128 v[189:192], v168, s[2:3] offset:11520
	global_load_b128 v[197:200], v168, s[2:3] offset:12800
	s_wait_loadcnt_dscnt 0x100
	v_mul_f64_e32 v[165:166], v[195:196], v[191:192]
	v_mul_f64_e32 v[201:202], v[193:194], v[191:192]
	s_delay_alu instid0(VALU_DEP_2) | instskip(NEXT) | instid1(VALU_DEP_2)
	v_fma_f64 v[191:192], v[193:194], v[189:190], -v[165:166]
	v_fma_f64 v[193:194], v[195:196], v[189:190], v[201:202]
	ds_load_b128 v[201:204], v168 offset:12800
	ds_load_b128 v[205:208], v168 offset:14080
	s_wait_loadcnt_dscnt 0x1
	v_mul_f64_e32 v[165:166], v[203:204], v[199:200]
	v_mul_f64_e32 v[189:190], v[201:202], v[199:200]
	s_delay_alu instid0(VALU_DEP_2)
	v_fma_f64 v[195:196], v[201:202], v[197:198], -v[165:166]
	s_clause 0x1
	global_load_b128 v[199:202], v168, s[2:3] offset:14080
	global_load_b128 v[209:212], v168, s[2:3] offset:15360
	v_fma_f64 v[197:198], v[203:204], v[197:198], v[189:190]
	s_wait_loadcnt_dscnt 0x100
	v_mul_f64_e32 v[165:166], v[207:208], v[201:202]
	v_mul_f64_e32 v[189:190], v[205:206], v[201:202]
	s_delay_alu instid0(VALU_DEP_2) | instskip(NEXT) | instid1(VALU_DEP_2)
	v_fma_f64 v[201:202], v[205:206], v[199:200], -v[165:166]
	v_fma_f64 v[203:204], v[207:208], v[199:200], v[189:190]
	s_wait_loadcnt 0x0
	v_mul_f64_e32 v[165:166], v[179:180], v[211:212]
	v_mul_f64_e32 v[189:190], v[177:178], v[211:212]
	s_delay_alu instid0(VALU_DEP_2) | instskip(NEXT) | instid1(VALU_DEP_2)
	v_fma_f64 v[177:178], v[177:178], v[209:210], -v[165:166]
	v_fma_f64 v[179:180], v[179:180], v[209:210], v[189:190]
	ds_store_b128 v168, v[161:164]
	ds_store_b128 v168, v[173:176] offset:1280
	ds_store_b128 v168, v[141:144] offset:2560
	;; [unrolled: 1-line block ×12, first 2 shown]
.LBB0_13:
	s_wait_alu 0xfffe
	s_or_b32 exec_lo, exec_lo, s1
	global_wb scope:SCOPE_SE
	s_wait_dscnt 0x0
	s_barrier_signal -1
	s_barrier_wait -1
	global_inv scope:SCOPE_SE
	s_and_saveexec_b32 s1, vcc_lo
	s_cbranch_execz .LBB0_15
; %bb.14:
	ds_load_b128 v[120:123], v168
	ds_load_b128 v[124:127], v168 offset:1280
	ds_load_b128 v[128:131], v168 offset:2560
	;; [unrolled: 1-line block ×12, first 2 shown]
.LBB0_15:
	s_wait_alu 0xfffe
	s_or_b32 exec_lo, exec_lo, s1
	s_wait_dscnt 0xb
	v_add_f64_e32 v[141:142], v[120:121], v[124:125]
	v_add_f64_e32 v[143:144], v[122:123], v[126:127]
	s_wait_dscnt 0x5
	v_add_f64_e32 v[145:146], v[118:119], v[114:115]
	v_add_f64_e64 v[147:148], v[118:119], -v[114:115]
	s_wait_dscnt 0x4
	v_add_f64_e32 v[153:154], v[106:107], v[110:111]
	v_add_f64_e64 v[155:156], v[110:111], -v[106:107]
	s_wait_dscnt 0x3
	v_add_f64_e32 v[157:158], v[100:101], v[136:137]
	v_add_f64_e32 v[159:160], v[102:103], v[138:139]
	s_wait_dscnt 0x2
	v_add_f64_e32 v[161:162], v[96:97], v[132:133]
	v_add_f64_e32 v[165:166], v[98:99], v[134:135]
	v_add_f64_e64 v[163:164], v[132:133], -v[96:97]
	s_wait_dscnt 0x1
	v_add_f64_e32 v[173:174], v[92:93], v[128:129]
	v_add_f64_e64 v[175:176], v[130:131], -v[94:95]
	v_add_f64_e64 v[177:178], v[128:129], -v[92:93]
	s_mov_b32 s30, 0x4267c47c
	s_mov_b32 s26, 0x42a4c3d2
	;; [unrolled: 1-line block ×24, first 2 shown]
	v_add_f64_e32 v[141:142], v[128:129], v[141:142]
	v_add_f64_e32 v[143:144], v[130:131], v[143:144]
	s_mov_b32 s37, 0x3fddbe06
	s_wait_alu 0xfffe
	s_mov_b32 s36, s30
	s_mov_b32 s29, 0x3fefc445
	s_mov_b32 s39, 0x3fedeba7
	s_mov_b32 s43, 0x3fe5384d
	s_mov_b32 s47, 0x3fcea1e5
	s_mov_b32 s34, s26
	s_mov_b32 s28, s16
	s_mov_b32 s38, s2
	s_mov_b32 s42, s14
	s_mov_b32 s46, s44
	global_wb scope:SCOPE_SE
	s_wait_dscnt 0x0
	s_barrier_signal -1
	s_barrier_wait -1
	global_inv scope:SCOPE_SE
	v_add_f64_e32 v[141:142], v[132:133], v[141:142]
	v_add_f64_e32 v[143:144], v[134:135], v[143:144]
	v_add_f64_e64 v[132:133], v[134:135], -v[98:99]
	v_add_f64_e32 v[134:135], v[94:95], v[130:131]
	s_delay_alu instid0(VALU_DEP_4) | instskip(NEXT) | instid1(VALU_DEP_4)
	v_add_f64_e32 v[141:142], v[136:137], v[141:142]
	v_add_f64_e32 v[143:144], v[138:139], v[143:144]
	v_add_f64_e64 v[136:137], v[136:137], -v[100:101]
	v_add_f64_e64 v[138:139], v[138:139], -v[102:103]
	s_delay_alu instid0(VALU_DEP_4) | instskip(NEXT) | instid1(VALU_DEP_4)
	v_add_f64_e32 v[141:142], v[108:109], v[141:142]
	v_add_f64_e32 v[143:144], v[110:111], v[143:144]
	s_delay_alu instid0(VALU_DEP_2) | instskip(NEXT) | instid1(VALU_DEP_2)
	v_add_f64_e32 v[149:150], v[116:117], v[141:142]
	v_add_f64_e32 v[151:152], v[118:119], v[143:144]
	;; [unrolled: 1-line block ×3, first 2 shown]
	v_add_f64_e64 v[143:144], v[116:117], -v[112:113]
	s_delay_alu instid0(VALU_DEP_4) | instskip(NEXT) | instid1(VALU_DEP_4)
	v_add_f64_e32 v[112:113], v[112:113], v[149:150]
	v_add_f64_e32 v[114:115], v[114:115], v[151:152]
	;; [unrolled: 1-line block ×3, first 2 shown]
	v_add_f64_e64 v[151:152], v[108:109], -v[104:105]
	s_delay_alu instid0(VALU_DEP_4) | instskip(NEXT) | instid1(VALU_DEP_4)
	v_add_f64_e32 v[104:105], v[104:105], v[112:113]
	v_add_f64_e32 v[106:107], v[106:107], v[114:115]
	s_delay_alu instid0(VALU_DEP_2) | instskip(NEXT) | instid1(VALU_DEP_2)
	v_add_f64_e32 v[100:101], v[100:101], v[104:105]
	v_add_f64_e32 v[102:103], v[102:103], v[106:107]
	s_delay_alu instid0(VALU_DEP_2) | instskip(NEXT) | instid1(VALU_DEP_2)
	v_add_f64_e32 v[96:97], v[96:97], v[100:101]
	v_add_f64_e32 v[98:99], v[98:99], v[102:103]
	;; [unrolled: 1-line block ×3, first 2 shown]
	v_add_f64_e64 v[102:103], v[124:125], -v[88:89]
	s_delay_alu instid0(VALU_DEP_4) | instskip(NEXT) | instid1(VALU_DEP_4)
	v_add_f64_e32 v[92:93], v[92:93], v[96:97]
	v_add_f64_e32 v[94:95], v[94:95], v[98:99]
	v_add_f64_e64 v[96:97], v[126:127], -v[90:91]
	v_add_f64_e32 v[98:99], v[88:89], v[124:125]
	v_mul_f64_e32 v[126:127], s[20:21], v[100:101]
	v_mul_f64_e32 v[128:129], s[10:11], v[100:101]
	;; [unrolled: 1-line block ×4, first 2 shown]
	v_add_f64_e32 v[88:89], v[88:89], v[92:93]
	v_add_f64_e32 v[90:91], v[90:91], v[94:95]
	v_mul_f64_e32 v[92:93], s[30:31], v[96:97]
	v_mul_f64_e32 v[94:95], s[26:27], v[96:97]
	;; [unrolled: 1-line block ×6, first 2 shown]
	s_wait_alu 0xfffe
	v_fma_f64 v[183:184], v[102:103], s[34:35], v[126:127]
	v_fma_f64 v[126:127], v[102:103], s[26:27], v[126:127]
	;; [unrolled: 1-line block ×9, first 2 shown]
	v_fma_f64 v[92:93], v[98:99], s[22:23], -v[92:93]
	v_fma_f64 v[112:113], v[98:99], s[20:21], v[94:95]
	v_fma_f64 v[94:95], v[98:99], s[20:21], -v[94:95]
	v_fma_f64 v[114:115], v[98:99], s[10:11], v[104:105]
	;; [unrolled: 2-line block ×5, first 2 shown]
	v_fma_f64 v[96:97], v[98:99], s[40:41], -v[96:97]
	v_mul_f64_e32 v[98:99], s[22:23], v[100:101]
	v_mul_f64_e32 v[100:101], s[40:41], v[100:101]
	v_add_f64_e32 v[183:184], v[122:123], v[183:184]
	v_add_f64_e32 v[126:127], v[122:123], v[126:127]
	;; [unrolled: 1-line block ×18, first 2 shown]
	v_fma_f64 v[181:182], v[102:103], s[36:37], v[98:99]
	v_mul_f64_e32 v[96:97], s[26:27], v[175:176]
	v_fma_f64 v[98:99], v[102:103], s[30:31], v[98:99]
	v_fma_f64 v[191:192], v[102:103], s[46:47], v[100:101]
	;; [unrolled: 1-line block ×3, first 2 shown]
	v_add_f64_e32 v[102:103], v[120:121], v[110:111]
	v_add_f64_e32 v[110:111], v[122:123], v[181:182]
	;; [unrolled: 1-line block ×3, first 2 shown]
	v_fma_f64 v[92:93], v[173:174], s[20:21], v[96:97]
	v_add_f64_e32 v[98:99], v[122:123], v[98:99]
	v_add_f64_e32 v[211:212], v[122:123], v[100:101]
	v_mul_f64_e32 v[100:101], s[20:21], v[134:135]
	v_fma_f64 v[96:97], v[173:174], s[20:21], -v[96:97]
	v_add_f64_e32 v[191:192], v[122:123], v[191:192]
	v_add_f64_e32 v[92:93], v[92:93], v[102:103]
	v_mul_f64_e32 v[102:103], s[16:17], v[132:133]
	v_fma_f64 v[94:95], v[177:178], s[34:35], v[100:101]
	v_fma_f64 v[100:101], v[177:178], s[26:27], v[100:101]
	v_add_f64_e32 v[96:97], v[96:97], v[181:182]
	s_delay_alu instid0(VALU_DEP_4) | instskip(NEXT) | instid1(VALU_DEP_4)
	v_fma_f64 v[104:105], v[161:162], s[10:11], v[102:103]
	v_add_f64_e32 v[94:95], v[94:95], v[110:111]
	s_delay_alu instid0(VALU_DEP_4) | instskip(SKIP_1) | instid1(VALU_DEP_4)
	v_add_f64_e32 v[98:99], v[100:101], v[98:99]
	v_fma_f64 v[100:101], v[161:162], s[10:11], -v[102:103]
	v_add_f64_e32 v[92:93], v[104:105], v[92:93]
	v_mul_f64_e32 v[104:105], s[10:11], v[165:166]
	s_delay_alu instid0(VALU_DEP_3) | instskip(NEXT) | instid1(VALU_DEP_2)
	v_add_f64_e32 v[96:97], v[100:101], v[96:97]
	v_fma_f64 v[106:107], v[163:164], s[28:29], v[104:105]
	v_fma_f64 v[100:101], v[163:164], s[16:17], v[104:105]
	s_delay_alu instid0(VALU_DEP_2) | instskip(SKIP_1) | instid1(VALU_DEP_3)
	v_add_f64_e32 v[94:95], v[106:107], v[94:95]
	v_mul_f64_e32 v[106:107], s[2:3], v[138:139]
	v_add_f64_e32 v[98:99], v[100:101], v[98:99]
	s_delay_alu instid0(VALU_DEP_2) | instskip(SKIP_1) | instid1(VALU_DEP_2)
	v_fma_f64 v[108:109], v[157:158], s[18:19], v[106:107]
	v_fma_f64 v[100:101], v[157:158], s[18:19], -v[106:107]
	v_add_f64_e32 v[92:93], v[108:109], v[92:93]
	v_mul_f64_e32 v[108:109], s[18:19], v[159:160]
	s_delay_alu instid0(VALU_DEP_3) | instskip(NEXT) | instid1(VALU_DEP_2)
	v_add_f64_e32 v[96:97], v[100:101], v[96:97]
	v_fma_f64 v[110:111], v[136:137], s[38:39], v[108:109]
	v_fma_f64 v[100:101], v[136:137], s[2:3], v[108:109]
	v_mul_f64_e32 v[108:109], s[44:45], v[132:133]
	s_delay_alu instid0(VALU_DEP_3) | instskip(SKIP_1) | instid1(VALU_DEP_4)
	v_add_f64_e32 v[94:95], v[110:111], v[94:95]
	v_mul_f64_e32 v[110:111], s[14:15], v[155:156]
	v_add_f64_e32 v[98:99], v[100:101], v[98:99]
	s_delay_alu instid0(VALU_DEP_2) | instskip(SKIP_3) | instid1(VALU_DEP_4)
	v_fma_f64 v[114:115], v[149:150], s[24:25], v[110:111]
	v_fma_f64 v[100:101], v[149:150], s[24:25], -v[110:111]
	v_fma_f64 v[110:111], v[161:162], s[40:41], v[108:109]
	v_fma_f64 v[108:109], v[161:162], s[40:41], -v[108:109]
	v_add_f64_e32 v[92:93], v[114:115], v[92:93]
	v_mul_f64_e32 v[114:115], s[24:25], v[153:154]
	v_add_f64_e32 v[96:97], v[100:101], v[96:97]
	s_delay_alu instid0(VALU_DEP_2) | instskip(SKIP_1) | instid1(VALU_DEP_2)
	v_fma_f64 v[116:117], v[151:152], s[42:43], v[114:115]
	v_fma_f64 v[100:101], v[151:152], s[14:15], v[114:115]
	v_add_f64_e32 v[94:95], v[116:117], v[94:95]
	v_mul_f64_e32 v[116:117], s[44:45], v[147:148]
	s_delay_alu instid0(VALU_DEP_3) | instskip(NEXT) | instid1(VALU_DEP_2)
	v_add_f64_e32 v[98:99], v[100:101], v[98:99]
	v_fma_f64 v[118:119], v[141:142], s[40:41], v[116:117]
	v_fma_f64 v[100:101], v[141:142], s[40:41], -v[116:117]
	s_delay_alu instid0(VALU_DEP_2) | instskip(SKIP_1) | instid1(VALU_DEP_3)
	v_add_f64_e32 v[92:93], v[118:119], v[92:93]
	v_mul_f64_e32 v[118:119], s[40:41], v[145:146]
	v_add_f64_e32 v[104:105], v[100:101], v[96:97]
	v_mul_f64_e32 v[100:101], s[2:3], v[175:176]
	s_delay_alu instid0(VALU_DEP_3) | instskip(SKIP_1) | instid1(VALU_DEP_3)
	v_fma_f64 v[102:103], v[143:144], s[44:45], v[118:119]
	v_fma_f64 v[120:121], v[143:144], s[46:47], v[118:119]
	;; [unrolled: 1-line block ×3, first 2 shown]
	v_fma_f64 v[100:101], v[173:174], s[18:19], -v[100:101]
	s_delay_alu instid0(VALU_DEP_4) | instskip(SKIP_1) | instid1(VALU_DEP_4)
	v_add_f64_e32 v[106:107], v[102:103], v[98:99]
	v_mul_f64_e32 v[102:103], s[18:19], v[134:135]
	v_add_f64_e32 v[96:97], v[96:97], v[112:113]
	s_delay_alu instid0(VALU_DEP_4) | instskip(SKIP_1) | instid1(VALU_DEP_4)
	v_add_f64_e32 v[100:101], v[100:101], v[193:194]
	v_add_f64_e32 v[94:95], v[120:121], v[94:95]
	v_fma_f64 v[98:99], v[177:178], s[38:39], v[102:103]
	s_delay_alu instid0(VALU_DEP_4) | instskip(SKIP_4) | instid1(VALU_DEP_4)
	v_add_f64_e32 v[96:97], v[110:111], v[96:97]
	v_mul_f64_e32 v[110:111], s[40:41], v[165:166]
	v_fma_f64 v[102:103], v[177:178], s[2:3], v[102:103]
	v_add_f64_e32 v[100:101], v[108:109], v[100:101]
	v_add_f64_e32 v[98:99], v[98:99], v[183:184]
	v_fma_f64 v[112:113], v[163:164], s[46:47], v[110:111]
	s_delay_alu instid0(VALU_DEP_4) | instskip(SKIP_1) | instid1(VALU_DEP_3)
	v_add_f64_e32 v[102:103], v[102:103], v[126:127]
	v_fma_f64 v[108:109], v[163:164], s[44:45], v[110:111]
	v_add_f64_e32 v[98:99], v[112:113], v[98:99]
	v_mul_f64_e32 v[112:113], s[42:43], v[138:139]
	s_delay_alu instid0(VALU_DEP_3) | instskip(NEXT) | instid1(VALU_DEP_2)
	v_add_f64_e32 v[102:103], v[108:109], v[102:103]
	v_fma_f64 v[114:115], v[157:158], s[24:25], v[112:113]
	v_fma_f64 v[108:109], v[157:158], s[24:25], -v[112:113]
	s_delay_alu instid0(VALU_DEP_2) | instskip(SKIP_1) | instid1(VALU_DEP_3)
	v_add_f64_e32 v[96:97], v[114:115], v[96:97]
	v_mul_f64_e32 v[114:115], s[24:25], v[159:160]
	v_add_f64_e32 v[100:101], v[108:109], v[100:101]
	s_delay_alu instid0(VALU_DEP_2) | instskip(SKIP_1) | instid1(VALU_DEP_2)
	v_fma_f64 v[116:117], v[136:137], s[14:15], v[114:115]
	v_fma_f64 v[108:109], v[136:137], s[42:43], v[114:115]
	v_add_f64_e32 v[98:99], v[116:117], v[98:99]
	v_mul_f64_e32 v[116:117], s[28:29], v[155:156]
	s_delay_alu instid0(VALU_DEP_3) | instskip(NEXT) | instid1(VALU_DEP_2)
	v_add_f64_e32 v[102:103], v[108:109], v[102:103]
	v_fma_f64 v[118:119], v[149:150], s[10:11], v[116:117]
	v_fma_f64 v[108:109], v[149:150], s[10:11], -v[116:117]
	v_mul_f64_e32 v[116:117], s[38:39], v[132:133]
	s_delay_alu instid0(VALU_DEP_3) | instskip(SKIP_1) | instid1(VALU_DEP_4)
	v_add_f64_e32 v[96:97], v[118:119], v[96:97]
	v_mul_f64_e32 v[118:119], s[10:11], v[153:154]
	v_add_f64_e32 v[100:101], v[108:109], v[100:101]
	s_delay_alu instid0(VALU_DEP_2) | instskip(SKIP_3) | instid1(VALU_DEP_4)
	v_fma_f64 v[120:121], v[151:152], s[16:17], v[118:119]
	v_fma_f64 v[108:109], v[151:152], s[28:29], v[118:119]
	;; [unrolled: 1-line block ×3, first 2 shown]
	v_fma_f64 v[116:117], v[161:162], s[18:19], -v[116:117]
	v_add_f64_e32 v[98:99], v[120:121], v[98:99]
	v_mul_f64_e32 v[120:121], s[36:37], v[147:148]
	v_add_f64_e32 v[102:103], v[108:109], v[102:103]
	s_delay_alu instid0(VALU_DEP_2) | instskip(SKIP_1) | instid1(VALU_DEP_2)
	v_fma_f64 v[122:123], v[141:142], s[22:23], v[120:121]
	v_fma_f64 v[108:109], v[141:142], s[22:23], -v[120:121]
	v_add_f64_e32 v[96:97], v[122:123], v[96:97]
	v_mul_f64_e32 v[122:123], s[22:23], v[145:146]
	s_delay_alu instid0(VALU_DEP_3) | instskip(SKIP_1) | instid1(VALU_DEP_3)
	v_add_f64_e32 v[112:113], v[108:109], v[100:101]
	v_mul_f64_e32 v[108:109], s[44:45], v[175:176]
	v_fma_f64 v[110:111], v[143:144], s[36:37], v[122:123]
	v_fma_f64 v[124:125], v[143:144], s[30:31], v[122:123]
	s_delay_alu instid0(VALU_DEP_3) | instskip(SKIP_1) | instid1(VALU_DEP_4)
	v_fma_f64 v[100:101], v[173:174], s[40:41], v[108:109]
	v_fma_f64 v[108:109], v[173:174], s[40:41], -v[108:109]
	v_add_f64_e32 v[114:115], v[110:111], v[102:103]
	v_mul_f64_e32 v[110:111], s[40:41], v[134:135]
	s_delay_alu instid0(VALU_DEP_4) | instskip(SKIP_2) | instid1(VALU_DEP_4)
	v_add_f64_e32 v[100:101], v[100:101], v[195:196]
	v_add_f64_e32 v[98:99], v[124:125], v[98:99]
	;; [unrolled: 1-line block ×3, first 2 shown]
	v_fma_f64 v[102:103], v[177:178], s[46:47], v[110:111]
	s_delay_alu instid0(VALU_DEP_4) | instskip(SKIP_4) | instid1(VALU_DEP_4)
	v_add_f64_e32 v[100:101], v[118:119], v[100:101]
	v_mul_f64_e32 v[118:119], s[18:19], v[165:166]
	v_fma_f64 v[110:111], v[177:178], s[44:45], v[110:111]
	v_add_f64_e32 v[108:109], v[116:117], v[108:109]
	v_add_f64_e32 v[102:103], v[102:103], v[185:186]
	v_fma_f64 v[120:121], v[163:164], s[2:3], v[118:119]
	s_delay_alu instid0(VALU_DEP_4) | instskip(SKIP_1) | instid1(VALU_DEP_3)
	v_add_f64_e32 v[110:111], v[110:111], v[128:129]
	v_fma_f64 v[116:117], v[163:164], s[38:39], v[118:119]
	v_add_f64_e32 v[102:103], v[120:121], v[102:103]
	v_mul_f64_e32 v[120:121], s[36:37], v[138:139]
	s_delay_alu instid0(VALU_DEP_3) | instskip(NEXT) | instid1(VALU_DEP_2)
	v_add_f64_e32 v[110:111], v[116:117], v[110:111]
	v_fma_f64 v[122:123], v[157:158], s[22:23], v[120:121]
	v_fma_f64 v[116:117], v[157:158], s[22:23], -v[120:121]
	v_mul_f64_e32 v[120:121], s[42:43], v[175:176]
	s_delay_alu instid0(VALU_DEP_3) | instskip(SKIP_1) | instid1(VALU_DEP_4)
	v_add_f64_e32 v[100:101], v[122:123], v[100:101]
	v_mul_f64_e32 v[122:123], s[22:23], v[159:160]
	v_add_f64_e32 v[108:109], v[116:117], v[108:109]
	s_delay_alu instid0(VALU_DEP_2) | instskip(SKIP_2) | instid1(VALU_DEP_3)
	v_fma_f64 v[124:125], v[136:137], s[30:31], v[122:123]
	v_fma_f64 v[116:117], v[136:137], s[36:37], v[122:123]
	v_mul_f64_e32 v[122:123], s[24:25], v[134:135]
	v_add_f64_e32 v[102:103], v[124:125], v[102:103]
	v_mul_f64_e32 v[124:125], s[26:27], v[155:156]
	s_delay_alu instid0(VALU_DEP_4) | instskip(NEXT) | instid1(VALU_DEP_2)
	v_add_f64_e32 v[110:111], v[116:117], v[110:111]
	v_fma_f64 v[126:127], v[149:150], s[20:21], v[124:125]
	v_fma_f64 v[116:117], v[149:150], s[20:21], -v[124:125]
	v_mul_f64_e32 v[124:125], s[36:37], v[132:133]
	s_delay_alu instid0(VALU_DEP_3) | instskip(SKIP_1) | instid1(VALU_DEP_4)
	v_add_f64_e32 v[100:101], v[126:127], v[100:101]
	v_mul_f64_e32 v[126:127], s[20:21], v[153:154]
	v_add_f64_e32 v[108:109], v[116:117], v[108:109]
	s_delay_alu instid0(VALU_DEP_2) | instskip(SKIP_3) | instid1(VALU_DEP_4)
	v_fma_f64 v[181:182], v[151:152], s[34:35], v[126:127]
	v_fma_f64 v[116:117], v[151:152], s[26:27], v[126:127]
	;; [unrolled: 1-line block ×3, first 2 shown]
	v_fma_f64 v[124:125], v[161:162], s[22:23], -v[124:125]
	v_add_f64_e32 v[102:103], v[181:182], v[102:103]
	v_mul_f64_e32 v[181:182], s[14:15], v[147:148]
	v_add_f64_e32 v[110:111], v[116:117], v[110:111]
	s_delay_alu instid0(VALU_DEP_2) | instskip(SKIP_1) | instid1(VALU_DEP_2)
	v_fma_f64 v[183:184], v[141:142], s[24:25], v[181:182]
	v_fma_f64 v[116:117], v[141:142], s[24:25], -v[181:182]
	v_add_f64_e32 v[100:101], v[183:184], v[100:101]
	v_mul_f64_e32 v[183:184], s[24:25], v[145:146]
	s_delay_alu instid0(VALU_DEP_3) | instskip(SKIP_2) | instid1(VALU_DEP_4)
	v_add_f64_e32 v[116:117], v[116:117], v[108:109]
	v_fma_f64 v[108:109], v[173:174], s[24:25], v[120:121]
	v_fma_f64 v[120:121], v[173:174], s[24:25], -v[120:121]
	v_fma_f64 v[118:119], v[143:144], s[14:15], v[183:184]
	v_fma_f64 v[185:186], v[143:144], s[42:43], v[183:184]
	s_delay_alu instid0(VALU_DEP_4) | instskip(NEXT) | instid1(VALU_DEP_4)
	v_add_f64_e32 v[108:109], v[108:109], v[199:200]
	v_add_f64_e32 v[120:121], v[120:121], v[201:202]
	s_delay_alu instid0(VALU_DEP_4) | instskip(SKIP_1) | instid1(VALU_DEP_4)
	v_add_f64_e32 v[118:119], v[118:119], v[110:111]
	v_fma_f64 v[110:111], v[177:178], s[14:15], v[122:123]
	v_add_f64_e32 v[108:109], v[126:127], v[108:109]
	v_mul_f64_e32 v[126:127], s[22:23], v[165:166]
	v_fma_f64 v[122:123], v[177:178], s[42:43], v[122:123]
	v_add_f64_e32 v[120:121], v[124:125], v[120:121]
	v_add_f64_e32 v[102:103], v[185:186], v[102:103]
	;; [unrolled: 1-line block ×3, first 2 shown]
	v_fma_f64 v[128:129], v[163:164], s[30:31], v[126:127]
	v_add_f64_e32 v[122:123], v[122:123], v[130:131]
	v_fma_f64 v[124:125], v[163:164], s[36:37], v[126:127]
	v_mul_f64_e32 v[130:131], s[10:11], v[134:135]
	s_delay_alu instid0(VALU_DEP_4) | instskip(SKIP_1) | instid1(VALU_DEP_4)
	v_add_f64_e32 v[110:111], v[128:129], v[110:111]
	v_mul_f64_e32 v[128:129], s[16:17], v[138:139]
	v_add_f64_e32 v[122:123], v[124:125], v[122:123]
	s_delay_alu instid0(VALU_DEP_2) | instskip(SKIP_3) | instid1(VALU_DEP_4)
	v_fma_f64 v[181:182], v[157:158], s[10:11], v[128:129]
	v_fma_f64 v[124:125], v[157:158], s[10:11], -v[128:129]
	v_mul_f64_e32 v[128:129], s[28:29], v[175:176]
	v_mul_f64_e32 v[175:176], s[36:37], v[175:176]
	v_add_f64_e32 v[108:109], v[181:182], v[108:109]
	v_mul_f64_e32 v[181:182], s[10:11], v[159:160]
	v_add_f64_e32 v[120:121], v[124:125], v[120:121]
	s_delay_alu instid0(VALU_DEP_2) | instskip(SKIP_2) | instid1(VALU_DEP_3)
	v_fma_f64 v[183:184], v[136:137], s[28:29], v[181:182]
	v_fma_f64 v[124:125], v[136:137], s[16:17], v[181:182]
	v_mul_f64_e32 v[181:182], s[26:27], v[132:133]
	v_add_f64_e32 v[110:111], v[183:184], v[110:111]
	v_mul_f64_e32 v[183:184], s[46:47], v[155:156]
	s_delay_alu instid0(VALU_DEP_4) | instskip(NEXT) | instid1(VALU_DEP_2)
	v_add_f64_e32 v[122:123], v[124:125], v[122:123]
	v_fma_f64 v[185:186], v[149:150], s[40:41], v[183:184]
	v_fma_f64 v[124:125], v[149:150], s[40:41], -v[183:184]
	v_fma_f64 v[183:184], v[161:162], s[20:21], v[181:182]
	s_delay_alu instid0(VALU_DEP_3) | instskip(SKIP_1) | instid1(VALU_DEP_4)
	v_add_f64_e32 v[108:109], v[185:186], v[108:109]
	v_mul_f64_e32 v[185:186], s[40:41], v[153:154]
	v_add_f64_e32 v[120:121], v[124:125], v[120:121]
	s_delay_alu instid0(VALU_DEP_2) | instskip(SKIP_1) | instid1(VALU_DEP_2)
	v_fma_f64 v[187:188], v[151:152], s[44:45], v[185:186]
	v_fma_f64 v[124:125], v[151:152], s[46:47], v[185:186]
	v_add_f64_e32 v[110:111], v[187:188], v[110:111]
	v_mul_f64_e32 v[187:188], s[34:35], v[147:148]
	s_delay_alu instid0(VALU_DEP_3) | instskip(NEXT) | instid1(VALU_DEP_2)
	v_add_f64_e32 v[122:123], v[124:125], v[122:123]
	v_fma_f64 v[193:194], v[141:142], s[20:21], v[187:188]
	v_fma_f64 v[124:125], v[141:142], s[20:21], -v[187:188]
	s_delay_alu instid0(VALU_DEP_2) | instskip(SKIP_1) | instid1(VALU_DEP_3)
	v_add_f64_e32 v[108:109], v[193:194], v[108:109]
	v_mul_f64_e32 v[193:194], s[20:21], v[145:146]
	v_add_f64_e32 v[124:125], v[124:125], v[120:121]
	v_fma_f64 v[120:121], v[173:174], s[10:11], v[128:129]
	v_fma_f64 v[128:129], v[173:174], s[10:11], -v[128:129]
	s_delay_alu instid0(VALU_DEP_4) | instskip(SKIP_1) | instid1(VALU_DEP_4)
	v_fma_f64 v[126:127], v[143:144], s[34:35], v[193:194]
	v_fma_f64 v[195:196], v[143:144], s[26:27], v[193:194]
	v_add_f64_e32 v[120:121], v[120:121], v[203:204]
	s_delay_alu instid0(VALU_DEP_4) | instskip(NEXT) | instid1(VALU_DEP_4)
	v_add_f64_e32 v[128:129], v[128:129], v[205:206]
	v_add_f64_e32 v[126:127], v[126:127], v[122:123]
	v_fma_f64 v[122:123], v[177:178], s[16:17], v[130:131]
	s_delay_alu instid0(VALU_DEP_4)
	v_add_f64_e32 v[120:121], v[183:184], v[120:121]
	v_mul_f64_e32 v[183:184], s[20:21], v[165:166]
	v_fma_f64 v[130:131], v[177:178], s[28:29], v[130:131]
	v_add_f64_e32 v[110:111], v[195:196], v[110:111]
	v_mul_f64_e32 v[165:166], s[24:25], v[165:166]
	v_add_f64_e32 v[122:123], v[122:123], v[189:190]
	v_fma_f64 v[185:186], v[163:164], s[34:35], v[183:184]
	v_add_f64_e32 v[130:131], v[130:131], v[179:180]
	v_fma_f64 v[179:180], v[161:162], s[20:21], -v[181:182]
	s_delay_alu instid0(VALU_DEP_3) | instskip(SKIP_1) | instid1(VALU_DEP_3)
	v_add_f64_e32 v[122:123], v[185:186], v[122:123]
	v_mul_f64_e32 v[185:186], s[46:47], v[138:139]
	v_add_f64_e32 v[128:129], v[179:180], v[128:129]
	v_fma_f64 v[179:180], v[163:164], s[26:27], v[183:184]
	v_mul_f64_e32 v[183:184], s[14:15], v[132:133]
	v_mul_f64_e32 v[138:139], s[34:35], v[138:139]
	v_fma_f64 v[187:188], v[157:158], s[40:41], v[185:186]
	s_delay_alu instid0(VALU_DEP_4)
	v_add_f64_e32 v[130:131], v[179:180], v[130:131]
	v_fma_f64 v[179:180], v[157:158], s[40:41], -v[185:186]
	v_fma_f64 v[132:133], v[161:162], s[24:25], v[183:184]
	v_fma_f64 v[161:162], v[161:162], s[24:25], -v[183:184]
	v_add_f64_e32 v[120:121], v[187:188], v[120:121]
	v_mul_f64_e32 v[187:188], s[40:41], v[159:160]
	v_mul_f64_e32 v[159:160], s[20:21], v[159:160]
	v_add_f64_e32 v[128:129], v[179:180], v[128:129]
	s_delay_alu instid0(VALU_DEP_3) | instskip(SKIP_1) | instid1(VALU_DEP_2)
	v_fma_f64 v[189:190], v[136:137], s[44:45], v[187:188]
	v_fma_f64 v[179:180], v[136:137], s[46:47], v[187:188]
	v_add_f64_e32 v[122:123], v[189:190], v[122:123]
	v_mul_f64_e32 v[189:190], s[36:37], v[155:156]
	s_delay_alu instid0(VALU_DEP_3) | instskip(SKIP_1) | instid1(VALU_DEP_3)
	v_add_f64_e32 v[130:131], v[179:180], v[130:131]
	v_mul_f64_e32 v[155:156], s[2:3], v[155:156]
	v_fma_f64 v[193:194], v[149:150], s[22:23], v[189:190]
	v_fma_f64 v[179:180], v[149:150], s[22:23], -v[189:190]
	s_delay_alu instid0(VALU_DEP_2) | instskip(SKIP_1) | instid1(VALU_DEP_3)
	v_add_f64_e32 v[120:121], v[193:194], v[120:121]
	v_mul_f64_e32 v[193:194], s[22:23], v[153:154]
	v_add_f64_e32 v[128:129], v[179:180], v[128:129]
	v_mul_f64_e32 v[153:154], s[18:19], v[153:154]
	s_delay_alu instid0(VALU_DEP_3) | instskip(SKIP_1) | instid1(VALU_DEP_2)
	v_fma_f64 v[195:196], v[151:152], s[30:31], v[193:194]
	v_fma_f64 v[179:180], v[151:152], s[36:37], v[193:194]
	v_add_f64_e32 v[122:123], v[195:196], v[122:123]
	v_mul_f64_e32 v[195:196], s[2:3], v[147:148]
	s_delay_alu instid0(VALU_DEP_3) | instskip(SKIP_1) | instid1(VALU_DEP_3)
	v_add_f64_e32 v[130:131], v[179:180], v[130:131]
	v_mul_f64_e32 v[147:148], s[28:29], v[147:148]
	v_fma_f64 v[197:198], v[141:142], s[18:19], v[195:196]
	v_fma_f64 v[179:180], v[141:142], s[18:19], -v[195:196]
	s_delay_alu instid0(VALU_DEP_2) | instskip(SKIP_1) | instid1(VALU_DEP_3)
	v_add_f64_e32 v[120:121], v[197:198], v[120:121]
	v_mul_f64_e32 v[197:198], s[18:19], v[145:146]
	v_add_f64_e32 v[128:129], v[179:180], v[128:129]
	v_fma_f64 v[179:180], v[173:174], s[22:23], v[175:176]
	v_fma_f64 v[173:174], v[173:174], s[22:23], -v[175:176]
	v_mul_f64_e32 v[145:146], s[10:11], v[145:146]
	v_fma_f64 v[181:182], v[143:144], s[2:3], v[197:198]
	v_fma_f64 v[199:200], v[143:144], s[38:39], v[197:198]
	v_add_f64_e32 v[179:180], v[179:180], v[207:208]
	v_add_f64_e32 v[173:174], v[173:174], v[209:210]
	s_delay_alu instid0(VALU_DEP_4) | instskip(SKIP_1) | instid1(VALU_DEP_4)
	v_add_f64_e32 v[130:131], v[181:182], v[130:131]
	v_mul_f64_e32 v[181:182], s[22:23], v[134:135]
	v_add_f64_e32 v[132:133], v[132:133], v[179:180]
	v_fma_f64 v[179:180], v[163:164], s[42:43], v[165:166]
	v_fma_f64 v[163:164], v[163:164], s[14:15], v[165:166]
	v_add_f64_e32 v[122:123], v[199:200], v[122:123]
	v_fma_f64 v[134:135], v[177:178], s[30:31], v[181:182]
	v_fma_f64 v[175:176], v[177:178], s[36:37], v[181:182]
	s_delay_alu instid0(VALU_DEP_2) | instskip(NEXT) | instid1(VALU_DEP_2)
	v_add_f64_e32 v[134:135], v[134:135], v[191:192]
	v_add_f64_e32 v[165:166], v[175:176], v[211:212]
	s_delay_alu instid0(VALU_DEP_2) | instskip(SKIP_3) | instid1(VALU_DEP_3)
	v_add_f64_e32 v[134:135], v[179:180], v[134:135]
	v_fma_f64 v[179:180], v[157:158], s[20:21], v[138:139]
	v_fma_f64 v[138:139], v[157:158], s[20:21], -v[138:139]
	v_add_f64_e32 v[157:158], v[161:162], v[173:174]
	v_add_f64_e32 v[132:133], v[179:180], v[132:133]
	v_fma_f64 v[179:180], v[136:137], s[26:27], v[159:160]
	v_fma_f64 v[136:137], v[136:137], s[34:35], v[159:160]
	v_add_f64_e32 v[159:160], v[163:164], v[165:166]
	v_add_f64_e32 v[138:139], v[138:139], v[157:158]
	s_delay_alu instid0(VALU_DEP_4) | instskip(SKIP_3) | instid1(VALU_DEP_3)
	v_add_f64_e32 v[134:135], v[179:180], v[134:135]
	v_fma_f64 v[179:180], v[149:150], s[18:19], v[155:156]
	v_fma_f64 v[149:150], v[149:150], s[18:19], -v[155:156]
	v_add_f64_e32 v[136:137], v[136:137], v[159:160]
	v_add_f64_e32 v[132:133], v[179:180], v[132:133]
	v_fma_f64 v[179:180], v[151:152], s[38:39], v[153:154]
	v_fma_f64 v[151:152], v[151:152], s[2:3], v[153:154]
	v_add_f64_e32 v[138:139], v[149:150], v[138:139]
	s_delay_alu instid0(VALU_DEP_3) | instskip(SKIP_2) | instid1(VALU_DEP_2)
	v_add_f64_e32 v[134:135], v[179:180], v[134:135]
	v_fma_f64 v[179:180], v[141:142], s[10:11], v[147:148]
	v_fma_f64 v[141:142], v[141:142], s[10:11], -v[147:148]
	v_add_f64_e32 v[132:133], v[179:180], v[132:133]
	v_fma_f64 v[179:180], v[143:144], s[16:17], v[145:146]
	v_fma_f64 v[143:144], v[143:144], s[28:29], v[145:146]
	v_add_f64_e32 v[145:146], v[151:152], v[136:137]
	v_add_f64_e32 v[136:137], v[141:142], v[138:139]
	s_delay_alu instid0(VALU_DEP_4) | instskip(NEXT) | instid1(VALU_DEP_3)
	v_add_f64_e32 v[134:135], v[179:180], v[134:135]
	v_add_f64_e32 v[138:139], v[143:144], v[145:146]
	s_and_saveexec_b32 s1, vcc_lo
	s_cbranch_execz .LBB0_17
; %bb.16:
	v_and_b32_e32 v141, 0xffff, v171
	s_delay_alu instid0(VALU_DEP_1)
	v_lshlrev_b32_e32 v141, 4, v141
	ds_store_b128 v141, v[88:91]
	ds_store_b128 v141, v[92:95] offset:16
	ds_store_b128 v141, v[96:99] offset:32
	;; [unrolled: 1-line block ×12, first 2 shown]
.LBB0_17:
	s_wait_alu 0xfffe
	s_or_b32 exec_lo, exec_lo, s1
	global_wb scope:SCOPE_SE
	s_wait_dscnt 0x0
	s_barrier_signal -1
	s_barrier_wait -1
	global_inv scope:SCOPE_SE
	s_and_saveexec_b32 s1, s0
	s_cbranch_execz .LBB0_19
; %bb.18:
	ds_load_b128 v[88:91], v168
	ds_load_b128 v[92:95], v168 offset:1040
	ds_load_b128 v[96:99], v168 offset:2080
	;; [unrolled: 1-line block ×15, first 2 shown]
.LBB0_19:
	s_wait_alu 0xfffe
	s_or_b32 exec_lo, exec_lo, s1
	global_wb scope:SCOPE_SE
	s_wait_dscnt 0x0
	s_barrier_signal -1
	s_barrier_wait -1
	global_inv scope:SCOPE_SE
	s_and_saveexec_b32 s10, s0
	s_cbranch_execz .LBB0_21
; %bb.20:
	v_mul_f64_e32 v[141:142], v[14:15], v[96:97]
	v_mul_f64_e32 v[143:144], v[38:39], v[116:117]
	;; [unrolled: 1-line block ×30, first 2 shown]
	s_mov_b32 s0, 0x667f3bcd
	s_mov_b32 s1, 0x3fe6a09e
	s_mov_b32 s3, 0xbfe6a09e
	s_wait_alu 0xfffe
	s_mov_b32 s2, s0
	s_mov_b32 s14, 0xcf328d46
	s_mov_b32 s15, 0x3fed906b
	s_mov_b32 s16, 0xa6aea964
	s_mov_b32 s17, 0xbfd87de2
	v_fma_f64 v[98:99], v[12:13], v[98:99], -v[141:142]
	v_fma_f64 v[118:119], v[36:37], v[118:119], -v[143:144]
	v_fma_f64 v[132:133], v[28:29], v[132:133], v[145:146]
	v_fma_f64 v[80:81], v[56:57], v[80:81], v[147:148]
	v_fma_f64 v[130:131], v[16:17], v[130:131], -v[149:150]
	v_fma_f64 v[108:109], v[4:5], v[108:109], v[151:152]
	v_fma_f64 v[104:105], v[32:33], v[104:105], v[153:154]
	v_fma_f64 v[28:29], v[28:29], v[134:135], -v[30:31]
	v_fma_f64 v[30:31], v[56:57], v[82:83], -v[58:59]
	v_fma_f64 v[12:13], v[12:13], v[96:97], v[14:15]
	v_fma_f64 v[14:15], v[36:37], v[116:117], v[38:39]
	v_fma_f64 v[36:37], v[8:9], v[102:103], -v[155:156]
	;; [unrolled: 4-line block ×6, first 2 shown]
	v_fma_f64 v[6:7], v[32:33], v[106:107], -v[34:35]
	v_fma_f64 v[16:17], v[16:17], v[128:129], v[18:19]
	s_mov_b32 s19, 0x3fd87de2
	s_wait_alu 0xfffe
	s_mov_b32 s18, s16
	s_mov_b32 s21, 0xbfed906b
	;; [unrolled: 1-line block ×3, first 2 shown]
	v_add_f64_e64 v[18:19], v[98:99], -v[118:119]
	v_add_f64_e64 v[32:33], v[132:133], -v[80:81]
	;; [unrolled: 1-line block ×17, first 2 shown]
	v_fma_f64 v[84:85], v[90:91], 2.0, -v[34:35]
	v_add_f64_e64 v[48:49], v[34:35], -v[40:41]
	v_fma_f64 v[28:29], v[28:29], 2.0, -v[30:31]
	v_add_f64_e32 v[52:53], v[30:31], v[14:15]
	v_add_f64_e64 v[58:59], v[38:39], -v[42:43]
	v_fma_f64 v[42:43], v[56:57], 2.0, -v[42:43]
	v_add_f64_e64 v[54:55], v[44:45], -v[46:47]
	v_fma_f64 v[30:31], v[94:95], 2.0, -v[46:47]
	v_fma_f64 v[46:47], v[82:83], 2.0, -v[44:45]
	;; [unrolled: 1-line block ×3, first 2 shown]
	v_add_f64_e32 v[76:77], v[26:27], v[10:11]
	v_fma_f64 v[8:9], v[8:9], 2.0, -v[10:11]
	v_fma_f64 v[20:21], v[20:21], 2.0, -v[22:23]
	v_add_f64_e32 v[78:79], v[22:23], v[2:3]
	v_fma_f64 v[0:1], v[0:1], 2.0, -v[2:3]
	v_fma_f64 v[4:5], v[4:5], 2.0, -v[6:7]
	;; [unrolled: 3-line block ×3, first 2 shown]
	v_fma_f64 v[32:33], v[98:99], 2.0, -v[18:19]
	v_fma_f64 v[22:23], v[36:37], 2.0, -v[38:39]
	;; [unrolled: 1-line block ×9, first 2 shown]
	v_fma_f64 v[44:45], v[50:51], s[0:1], v[48:49]
	v_fma_f64 v[56:57], v[58:59], s[0:1], v[54:55]
	v_fma_f64 v[10:11], v[10:11], 2.0, -v[76:77]
	v_add_f64_e64 v[42:43], v[8:9], -v[42:43]
	v_add_f64_e64 v[20:21], v[46:47], -v[20:21]
	v_fma_f64 v[2:3], v[2:3], 2.0, -v[78:79]
	v_add_f64_e64 v[30:31], v[0:1], -v[30:31]
	v_add_f64_e64 v[4:5], v[84:85], -v[4:5]
	v_fma_f64 v[16:17], v[16:17], 2.0, -v[80:81]
	v_fma_f64 v[82:83], v[76:77], s[0:1], v[78:79]
	v_add_f64_e64 v[12:13], v[6:7], -v[12:13]
	v_add_f64_e64 v[28:29], v[32:33], -v[28:29]
	;; [unrolled: 1-line block ×3, first 2 shown]
	v_fma_f64 v[86:87], v[52:53], s[0:1], v[80:81]
	v_add_f64_e64 v[36:37], v[26:27], -v[36:37]
	v_fma_f64 v[88:89], v[18:19], s[2:3], v[34:35]
	v_fma_f64 v[90:91], v[38:39], s[2:3], v[40:41]
	;; [unrolled: 1-line block ×4, first 2 shown]
	v_fma_f64 v[8:9], v[8:9], 2.0, -v[42:43]
	v_add_f64_e64 v[42:43], v[20:21], -v[42:43]
	v_fma_f64 v[92:93], v[10:11], s[2:3], v[2:3]
	v_fma_f64 v[0:1], v[0:1], 2.0, -v[30:31]
	v_fma_f64 v[56:57], v[84:85], 2.0, -v[4:5]
	v_fma_f64 v[94:95], v[14:15], s[2:3], v[16:17]
	v_fma_f64 v[58:59], v[58:59], s[0:1], v[82:83]
	v_add_f64_e64 v[76:77], v[4:5], -v[12:13]
	v_fma_f64 v[32:33], v[32:33], 2.0, -v[28:29]
	v_add_f64_e32 v[82:83], v[24:25], v[30:31]
	v_fma_f64 v[50:51], v[50:51], s[0:1], v[86:87]
	v_add_f64_e32 v[84:85], v[36:37], v[28:29]
	v_fma_f64 v[26:27], v[26:27], 2.0, -v[36:37]
	v_fma_f64 v[6:7], v[6:7], 2.0, -v[12:13]
	;; [unrolled: 1-line block ×4, first 2 shown]
	v_fma_f64 v[86:87], v[14:15], s[2:3], v[88:89]
	v_fma_f64 v[24:25], v[10:11], s[2:3], v[90:91]
	v_fma_f64 v[48:49], v[48:49], 2.0, -v[44:45]
	v_fma_f64 v[20:21], v[20:21], 2.0, -v[42:43]
	v_fma_f64 v[28:29], v[38:39], s[0:1], v[92:93]
	v_add_f64_e64 v[8:9], v[0:1], -v[8:9]
	v_fma_f64 v[88:89], v[18:19], s[0:1], v[94:95]
	v_fma_f64 v[14:15], v[78:79], 2.0, -v[58:59]
	v_add_f64_e64 v[46:47], v[56:57], -v[32:33]
	v_fma_f64 v[32:33], v[54:55], 2.0, -v[52:53]
	v_fma_f64 v[54:55], v[4:5], 2.0, -v[76:77]
	;; [unrolled: 1-line block ×5, first 2 shown]
	v_add_f64_e64 v[90:91], v[26:27], -v[6:7]
	v_add_f64_e64 v[22:23], v[12:13], -v[22:23]
	v_fma_f64 v[4:5], v[42:43], s[0:1], v[76:77]
	v_fma_f64 v[10:11], v[82:83], s[0:1], v[84:85]
	v_fma_f64 v[92:93], v[34:35], 2.0, -v[86:87]
	v_fma_f64 v[34:35], v[40:41], 2.0, -v[24:25]
	s_wait_alu 0xfffe
	v_fma_f64 v[36:37], v[24:25], s[18:19], v[86:87]
	v_fma_f64 v[30:31], v[2:3], 2.0, -v[28:29]
	v_fma_f64 v[2:3], v[52:53], s[14:15], v[44:45]
	v_fma_f64 v[106:107], v[0:1], 2.0, -v[8:9]
	v_fma_f64 v[94:95], v[16:17], 2.0, -v[88:89]
	v_fma_f64 v[16:17], v[58:59], s[14:15], v[50:51]
	v_fma_f64 v[38:39], v[28:29], s[18:19], v[88:89]
	v_fma_f64 v[56:57], v[56:57], 2.0, -v[46:47]
	v_fma_f64 v[40:41], v[32:33], s[16:17], v[48:49]
	v_fma_f64 v[96:97], v[20:21], s[2:3], v[54:55]
	;; [unrolled: 1-line block ×4, first 2 shown]
	v_fma_f64 v[104:105], v[26:27], 2.0, -v[90:91]
	v_fma_f64 v[102:103], v[12:13], 2.0, -v[22:23]
	v_fma_f64 v[6:7], v[82:83], s[2:3], v[4:5]
	v_fma_f64 v[4:5], v[42:43], s[0:1], v[10:11]
	v_add_f64_e64 v[10:11], v[46:47], -v[8:9]
	v_add_f64_e32 v[8:9], v[90:91], v[22:23]
	v_fma_f64 v[108:109], v[34:35], s[20:21], v[92:93]
	v_fma_f64 v[22:23], v[28:29], s[20:21], v[36:37]
	;; [unrolled: 1-line block ×10, first 2 shown]
	v_add_f64_e64 v[26:27], v[56:57], -v[102:103]
	v_add_f64_e64 v[24:25], v[104:105], -v[106:107]
	v_fma_f64 v[38:39], v[76:77], 2.0, -v[6:7]
	v_fma_f64 v[36:37], v[84:85], 2.0, -v[4:5]
	;; [unrolled: 1-line block ×4, first 2 shown]
	v_fma_f64 v[30:31], v[30:31], s[16:17], v[108:109]
	v_fma_f64 v[28:29], v[34:35], s[18:19], v[110:111]
	v_fma_f64 v[34:35], v[44:45], 2.0, -v[2:3]
	v_fma_f64 v[32:33], v[50:51], 2.0, -v[0:1]
	;; [unrolled: 1-line block ×10, first 2 shown]
	v_mul_u32_u24_e32 v80, 0xd0, v172
	s_delay_alu instid0(VALU_DEP_1) | instskip(NEXT) | instid1(VALU_DEP_1)
	v_or_b32_e32 v80, v80, v170
	v_lshlrev_b32_e32 v80, 4, v80
	v_fma_f64 v[78:79], v[92:93], 2.0, -v[30:31]
	v_fma_f64 v[76:77], v[94:95], 2.0, -v[28:29]
	ds_store_b128 v80, v[36:39] offset:1248
	ds_store_b128 v80, v[32:35] offset:1456
	;; [unrolled: 1-line block ×12, first 2 shown]
	ds_store_b128 v80, v[56:59]
	ds_store_b128 v80, v[76:79] offset:208
	ds_store_b128 v80, v[4:7] offset:2912
	;; [unrolled: 1-line block ×3, first 2 shown]
.LBB0_21:
	s_wait_alu 0xfffe
	s_or_b32 exec_lo, exec_lo, s10
	global_wb scope:SCOPE_SE
	s_wait_dscnt 0x0
	s_barrier_signal -1
	s_barrier_wait -1
	global_inv scope:SCOPE_SE
	ds_load_b128 v[0:3], v168 offset:3328
	ds_load_b128 v[4:7], v168 offset:6656
	;; [unrolled: 1-line block ×4, first 2 shown]
	s_mov_b32 s0, 0x134454ff
	s_mov_b32 s1, 0xbfee6f0e
	;; [unrolled: 1-line block ×3, first 2 shown]
	s_wait_alu 0xfffe
	s_mov_b32 s2, s0
	s_wait_dscnt 0x3
	v_mul_f64_e32 v[16:17], v[74:75], v[2:3]
	s_wait_dscnt 0x2
	v_mul_f64_e32 v[18:19], v[70:71], v[6:7]
	;; [unrolled: 2-line block ×4, first 2 shown]
	v_mul_f64_e32 v[26:27], v[70:71], v[4:5]
	v_mul_f64_e32 v[28:29], v[66:67], v[8:9]
	;; [unrolled: 1-line block ×4, first 2 shown]
	v_fma_f64 v[16:17], v[72:73], v[0:1], v[16:17]
	v_fma_f64 v[4:5], v[68:69], v[4:5], v[18:19]
	v_fma_f64 v[8:9], v[64:65], v[8:9], v[20:21]
	v_fma_f64 v[12:13], v[60:61], v[12:13], v[24:25]
	v_fma_f64 v[6:7], v[68:69], v[6:7], -v[26:27]
	v_fma_f64 v[10:11], v[64:65], v[10:11], -v[28:29]
	;; [unrolled: 1-line block ×4, first 2 shown]
	ds_load_b128 v[0:3], v168
	s_wait_dscnt 0x0
	v_add_f64_e32 v[28:29], v[0:1], v[16:17]
	v_add_f64_e32 v[20:21], v[4:5], v[8:9]
	;; [unrolled: 1-line block ×3, first 2 shown]
	v_add_f64_e64 v[36:37], v[16:17], -v[12:13]
	v_add_f64_e32 v[24:25], v[6:7], v[10:11]
	v_add_f64_e32 v[34:35], v[2:3], v[18:19]
	;; [unrolled: 1-line block ×3, first 2 shown]
	v_add_f64_e64 v[30:31], v[18:19], -v[14:15]
	v_add_f64_e64 v[32:33], v[6:7], -v[10:11]
	;; [unrolled: 1-line block ×8, first 2 shown]
	v_fma_f64 v[20:21], v[20:21], -0.5, v[0:1]
	v_fma_f64 v[0:1], v[22:23], -0.5, v[0:1]
	v_add_f64_e64 v[22:23], v[4:5], -v[8:9]
	v_fma_f64 v[24:25], v[24:25], -0.5, v[2:3]
	v_add_f64_e32 v[6:7], v[34:35], v[6:7]
	v_fma_f64 v[2:3], v[26:27], -0.5, v[2:3]
	v_add_f64_e64 v[26:27], v[16:17], -v[4:5]
	v_add_f64_e64 v[16:17], v[4:5], -v[16:17]
	v_add_f64_e32 v[4:5], v[28:29], v[4:5]
	v_add_f64_e32 v[18:19], v[18:19], v[46:47]
	v_fma_f64 v[28:29], v[30:31], s[0:1], v[20:21]
	s_wait_alu 0xfffe
	v_fma_f64 v[20:21], v[30:31], s[2:3], v[20:21]
	v_fma_f64 v[34:35], v[32:33], s[2:3], v[0:1]
	;; [unrolled: 1-line block ×7, first 2 shown]
	s_mov_b32 s0, 0x4755a5e
	s_mov_b32 s1, 0xbfe2cf23
	s_mov_b32 s3, 0x3fe2cf23
	s_wait_alu 0xfffe
	s_mov_b32 s2, s0
	v_add_f64_e32 v[4:5], v[4:5], v[8:9]
	v_add_f64_e32 v[6:7], v[6:7], v[10:11]
	;; [unrolled: 1-line block ×5, first 2 shown]
	v_fma_f64 v[8:9], v[32:33], s[0:1], v[28:29]
	s_wait_alu 0xfffe
	v_fma_f64 v[10:11], v[32:33], s[2:3], v[20:21]
	v_fma_f64 v[20:21], v[30:31], s[0:1], v[34:35]
	;; [unrolled: 1-line block ×7, first 2 shown]
	s_mov_b32 s0, 0x372fe950
	s_mov_b32 s1, 0x3fd3c6ef
	v_add_f64_e32 v[0:1], v[4:5], v[12:13]
	v_add_f64_e32 v[2:3], v[6:7], v[14:15]
	s_wait_alu 0xfffe
	v_fma_f64 v[4:5], v[26:27], s[0:1], v[8:9]
	v_fma_f64 v[8:9], v[26:27], s[0:1], v[10:11]
	v_fma_f64 v[12:13], v[16:17], s[0:1], v[20:21]
	v_fma_f64 v[16:17], v[16:17], s[0:1], v[28:29]
	v_fma_f64 v[6:7], v[38:39], s[0:1], v[30:31]
	v_fma_f64 v[14:15], v[18:19], s[0:1], v[32:33]
	v_fma_f64 v[18:19], v[18:19], s[0:1], v[34:35]
	v_fma_f64 v[10:11], v[38:39], s[0:1], v[22:23]
	ds_store_b128 v168, v[0:3]
	ds_store_b128 v168, v[4:7] offset:3328
	ds_store_b128 v168, v[12:15] offset:6656
	;; [unrolled: 1-line block ×4, first 2 shown]
	global_wb scope:SCOPE_SE
	s_wait_dscnt 0x0
	s_barrier_signal -1
	s_barrier_wait -1
	global_inv scope:SCOPE_SE
	s_and_b32 exec_lo, exec_lo, vcc_lo
	s_cbranch_execz .LBB0_23
; %bb.22:
	s_clause 0xc
	global_load_b128 v[0:3], v168, s[12:13]
	global_load_b128 v[4:7], v168, s[12:13] offset:1280
	global_load_b128 v[8:11], v168, s[12:13] offset:2560
	;; [unrolled: 1-line block ×12, first 2 shown]
	v_mad_co_u64_u32 v[60:61], null, s4, v169, 0
	v_mad_co_u64_u32 v[52:53], null, s6, v140, 0
	s_mul_u64 s[0:1], s[4:5], 0x500
	s_mov_b32 s2, 0x1f81f820
	s_mov_b32 s3, 0x3f4f81f8
	s_delay_alu instid0(VALU_DEP_2) | instskip(NEXT) | instid1(VALU_DEP_1)
	v_mov_b32_e32 v54, v61
	v_mad_co_u64_u32 v[55:56], null, s7, v140, v[53:54]
	s_delay_alu instid0(VALU_DEP_1) | instskip(SKIP_1) | instid1(VALU_DEP_2)
	v_mov_b32_e32 v53, v55
	v_mad_co_u64_u32 v[56:57], null, s5, v169, v[54:55]
	v_lshlrev_b64_e32 v[62:63], 4, v[52:53]
	s_delay_alu instid0(VALU_DEP_2)
	v_mov_b32_e32 v61, v56
	ds_load_b128 v[52:55], v168
	ds_load_b128 v[56:59], v168 offset:1280
	v_add_co_u32 v148, vcc_lo, s8, v62
	v_add_co_ci_u32_e32 v149, vcc_lo, s9, v63, vcc_lo
	v_lshlrev_b64_e32 v[68:69], 4, v[60:61]
	ds_load_b128 v[60:63], v168 offset:2560
	ds_load_b128 v[64:67], v168 offset:3840
	v_add_co_u32 v104, vcc_lo, v148, v68
	s_wait_alu 0xfffd
	v_add_co_ci_u32_e32 v105, vcc_lo, v149, v69, vcc_lo
	ds_load_b128 v[68:71], v168 offset:5120
	ds_load_b128 v[72:75], v168 offset:6400
	;; [unrolled: 1-line block ×9, first 2 shown]
	s_wait_alu 0xfffe
	v_add_co_u32 v106, vcc_lo, v104, s0
	s_wait_alu 0xfffd
	v_add_co_ci_u32_e32 v107, vcc_lo, s1, v105, vcc_lo
	s_delay_alu instid0(VALU_DEP_2) | instskip(SKIP_1) | instid1(VALU_DEP_2)
	v_add_co_u32 v108, vcc_lo, v106, s0
	s_wait_alu 0xfffd
	v_add_co_ci_u32_e32 v109, vcc_lo, s1, v107, vcc_lo
	s_delay_alu instid0(VALU_DEP_2) | instskip(SKIP_1) | instid1(VALU_DEP_2)
	;; [unrolled: 4-line block ×6, first 2 shown]
	v_add_co_u32 v144, vcc_lo, v142, s0
	s_wait_alu 0xfffd
	v_add_co_ci_u32_e32 v145, vcc_lo, s1, v143, vcc_lo
	s_delay_alu instid0(VALU_DEP_1)
	v_mad_co_u64_u32 v[146:147], null, 0xa00, s4, v[144:145]
	s_wait_loadcnt_dscnt 0xc0c
	v_mul_f64_e32 v[116:117], v[54:55], v[2:3]
	v_mul_f64_e32 v[2:3], v[52:53], v[2:3]
	s_wait_loadcnt_dscnt 0xb0b
	v_mul_f64_e32 v[118:119], v[58:59], v[6:7]
	v_mul_f64_e32 v[6:7], v[56:57], v[6:7]
	;; [unrolled: 3-line block ×13, first 2 shown]
	v_fma_f64 v[52:53], v[52:53], v[0:1], v[116:117]
	v_fma_f64 v[2:3], v[0:1], v[54:55], -v[2:3]
	v_mov_b32_e32 v0, v147
	v_fma_f64 v[54:55], v[56:57], v[4:5], v[118:119]
	v_fma_f64 v[6:7], v[4:5], v[58:59], -v[6:7]
	v_fma_f64 v[56:57], v[60:61], v[8:9], v[120:121]
	v_fma_f64 v[10:11], v[8:9], v[62:63], -v[10:11]
	;; [unrolled: 2-line block ×12, first 2 shown]
	v_mad_co_u64_u32 v[80:81], null, 0xa00, s5, v[0:1]
	v_mad_co_u64_u32 v[78:79], null, s4, v167, 0
	s_delay_alu instid0(VALU_DEP_2) | instskip(SKIP_2) | instid1(VALU_DEP_4)
	v_mov_b32_e32 v147, v80
	v_mul_f64_e32 v[0:1], s[2:3], v[52:53]
	v_mul_f64_e32 v[2:3], s[2:3], v[2:3]
	v_mad_co_u64_u32 v[52:53], null, s5, v167, v[79:80]
	v_mul_f64_e32 v[4:5], s[2:3], v[54:55]
	v_mul_f64_e32 v[6:7], s[2:3], v[6:7]
	v_mul_f64_e32 v[8:9], s[2:3], v[56:57]
	v_mul_f64_e32 v[10:11], s[2:3], v[10:11]
	v_mul_f64_e32 v[12:13], s[2:3], v[58:59]
	v_mul_f64_e32 v[14:15], s[2:3], v[14:15]
	v_mul_f64_e32 v[16:17], s[2:3], v[60:61]
	v_mul_f64_e32 v[18:19], s[2:3], v[18:19]
	v_mul_f64_e32 v[20:21], s[2:3], v[62:63]
	v_mul_f64_e32 v[22:23], s[2:3], v[22:23]
	v_mul_f64_e32 v[24:25], s[2:3], v[64:65]
	v_mul_f64_e32 v[26:27], s[2:3], v[26:27]
	v_mul_f64_e32 v[28:29], s[2:3], v[66:67]
	v_mul_f64_e32 v[30:31], s[2:3], v[30:31]
	v_mul_f64_e32 v[32:33], s[2:3], v[68:69]
	v_mul_f64_e32 v[34:35], s[2:3], v[34:35]
	v_mul_f64_e32 v[36:37], s[2:3], v[70:71]
	v_mul_f64_e32 v[38:39], s[2:3], v[38:39]
	v_mul_f64_e32 v[40:41], s[2:3], v[72:73]
	v_mul_f64_e32 v[42:43], s[2:3], v[42:43]
	v_mul_f64_e32 v[44:45], s[2:3], v[74:75]
	v_mul_f64_e32 v[46:47], s[2:3], v[46:47]
	v_mul_f64_e32 v[48:49], s[2:3], v[76:77]
	v_mul_f64_e32 v[50:51], s[2:3], v[50:51]
	v_mov_b32_e32 v79, v52
	v_add_co_u32 v52, vcc_lo, v146, s0
	s_wait_alu 0xfffd
	v_add_co_ci_u32_e32 v53, vcc_lo, s1, v147, vcc_lo
	s_delay_alu instid0(VALU_DEP_3) | instskip(NEXT) | instid1(VALU_DEP_3)
	v_lshlrev_b64_e32 v[54:55], 4, v[78:79]
	v_add_co_u32 v56, vcc_lo, v52, s0
	s_wait_alu 0xfffd
	s_delay_alu instid0(VALU_DEP_3) | instskip(NEXT) | instid1(VALU_DEP_3)
	v_add_co_ci_u32_e32 v57, vcc_lo, s1, v53, vcc_lo
	v_add_co_u32 v54, vcc_lo, v148, v54
	s_wait_alu 0xfffd
	v_add_co_ci_u32_e32 v55, vcc_lo, v149, v55, vcc_lo
	v_add_co_u32 v58, vcc_lo, v56, s0
	s_wait_alu 0xfffd
	v_add_co_ci_u32_e32 v59, vcc_lo, s1, v57, vcc_lo
	s_clause 0x4
	global_store_b128 v[104:105], v[0:3], off
	global_store_b128 v[106:107], v[4:7], off
	;; [unrolled: 1-line block ×13, first 2 shown]
.LBB0_23:
	s_nop 0
	s_sendmsg sendmsg(MSG_DEALLOC_VGPRS)
	s_endpgm
	.section	.rodata,"a",@progbits
	.p2align	6, 0x0
	.amdhsa_kernel bluestein_single_back_len1040_dim1_dp_op_CI_CI
		.amdhsa_group_segment_fixed_size 16640
		.amdhsa_private_segment_fixed_size 0
		.amdhsa_kernarg_size 104
		.amdhsa_user_sgpr_count 2
		.amdhsa_user_sgpr_dispatch_ptr 0
		.amdhsa_user_sgpr_queue_ptr 0
		.amdhsa_user_sgpr_kernarg_segment_ptr 1
		.amdhsa_user_sgpr_dispatch_id 0
		.amdhsa_user_sgpr_private_segment_size 0
		.amdhsa_wavefront_size32 1
		.amdhsa_uses_dynamic_stack 0
		.amdhsa_enable_private_segment 0
		.amdhsa_system_sgpr_workgroup_id_x 1
		.amdhsa_system_sgpr_workgroup_id_y 0
		.amdhsa_system_sgpr_workgroup_id_z 0
		.amdhsa_system_sgpr_workgroup_info 0
		.amdhsa_system_vgpr_workitem_id 0
		.amdhsa_next_free_vgpr 254
		.amdhsa_next_free_sgpr 48
		.amdhsa_reserve_vcc 1
		.amdhsa_float_round_mode_32 0
		.amdhsa_float_round_mode_16_64 0
		.amdhsa_float_denorm_mode_32 3
		.amdhsa_float_denorm_mode_16_64 3
		.amdhsa_fp16_overflow 0
		.amdhsa_workgroup_processor_mode 1
		.amdhsa_memory_ordered 1
		.amdhsa_forward_progress 0
		.amdhsa_round_robin_scheduling 0
		.amdhsa_exception_fp_ieee_invalid_op 0
		.amdhsa_exception_fp_denorm_src 0
		.amdhsa_exception_fp_ieee_div_zero 0
		.amdhsa_exception_fp_ieee_overflow 0
		.amdhsa_exception_fp_ieee_underflow 0
		.amdhsa_exception_fp_ieee_inexact 0
		.amdhsa_exception_int_div_zero 0
	.end_amdhsa_kernel
	.text
.Lfunc_end0:
	.size	bluestein_single_back_len1040_dim1_dp_op_CI_CI, .Lfunc_end0-bluestein_single_back_len1040_dim1_dp_op_CI_CI
                                        ; -- End function
	.section	.AMDGPU.csdata,"",@progbits
; Kernel info:
; codeLenInByte = 15372
; NumSgprs: 50
; NumVgprs: 254
; ScratchSize: 0
; MemoryBound: 0
; FloatMode: 240
; IeeeMode: 1
; LDSByteSize: 16640 bytes/workgroup (compile time only)
; SGPRBlocks: 6
; VGPRBlocks: 31
; NumSGPRsForWavesPerEU: 50
; NumVGPRsForWavesPerEU: 254
; Occupancy: 5
; WaveLimiterHint : 1
; COMPUTE_PGM_RSRC2:SCRATCH_EN: 0
; COMPUTE_PGM_RSRC2:USER_SGPR: 2
; COMPUTE_PGM_RSRC2:TRAP_HANDLER: 0
; COMPUTE_PGM_RSRC2:TGID_X_EN: 1
; COMPUTE_PGM_RSRC2:TGID_Y_EN: 0
; COMPUTE_PGM_RSRC2:TGID_Z_EN: 0
; COMPUTE_PGM_RSRC2:TIDIG_COMP_CNT: 0
	.text
	.p2alignl 7, 3214868480
	.fill 96, 4, 3214868480
	.type	__hip_cuid_89bc888a0cd684ee,@object ; @__hip_cuid_89bc888a0cd684ee
	.section	.bss,"aw",@nobits
	.globl	__hip_cuid_89bc888a0cd684ee
__hip_cuid_89bc888a0cd684ee:
	.byte	0                               ; 0x0
	.size	__hip_cuid_89bc888a0cd684ee, 1

	.ident	"AMD clang version 19.0.0git (https://github.com/RadeonOpenCompute/llvm-project roc-6.4.0 25133 c7fe45cf4b819c5991fe208aaa96edf142730f1d)"
	.section	".note.GNU-stack","",@progbits
	.addrsig
	.addrsig_sym __hip_cuid_89bc888a0cd684ee
	.amdgpu_metadata
---
amdhsa.kernels:
  - .args:
      - .actual_access:  read_only
        .address_space:  global
        .offset:         0
        .size:           8
        .value_kind:     global_buffer
      - .actual_access:  read_only
        .address_space:  global
        .offset:         8
        .size:           8
        .value_kind:     global_buffer
      - .actual_access:  read_only
        .address_space:  global
        .offset:         16
        .size:           8
        .value_kind:     global_buffer
      - .actual_access:  read_only
        .address_space:  global
        .offset:         24
        .size:           8
        .value_kind:     global_buffer
      - .actual_access:  read_only
        .address_space:  global
        .offset:         32
        .size:           8
        .value_kind:     global_buffer
      - .offset:         40
        .size:           8
        .value_kind:     by_value
      - .address_space:  global
        .offset:         48
        .size:           8
        .value_kind:     global_buffer
      - .address_space:  global
        .offset:         56
        .size:           8
        .value_kind:     global_buffer
      - .address_space:  global
        .offset:         64
        .size:           8
        .value_kind:     global_buffer
      - .address_space:  global
        .offset:         72
        .size:           8
        .value_kind:     global_buffer
      - .offset:         80
        .size:           4
        .value_kind:     by_value
      - .address_space:  global
        .offset:         88
        .size:           8
        .value_kind:     global_buffer
      - .address_space:  global
        .offset:         96
        .size:           8
        .value_kind:     global_buffer
    .group_segment_fixed_size: 16640
    .kernarg_segment_align: 8
    .kernarg_segment_size: 104
    .language:       OpenCL C
    .language_version:
      - 2
      - 0
    .max_flat_workgroup_size: 208
    .name:           bluestein_single_back_len1040_dim1_dp_op_CI_CI
    .private_segment_fixed_size: 0
    .sgpr_count:     50
    .sgpr_spill_count: 0
    .symbol:         bluestein_single_back_len1040_dim1_dp_op_CI_CI.kd
    .uniform_work_group_size: 1
    .uses_dynamic_stack: false
    .vgpr_count:     254
    .vgpr_spill_count: 0
    .wavefront_size: 32
    .workgroup_processor_mode: 1
amdhsa.target:   amdgcn-amd-amdhsa--gfx1201
amdhsa.version:
  - 1
  - 2
...

	.end_amdgpu_metadata
